;; amdgpu-corpus repo=ROCm/rocFFT kind=compiled arch=gfx90a opt=O3
	.text
	.amdgcn_target "amdgcn-amd-amdhsa--gfx90a"
	.amdhsa_code_object_version 6
	.protected	bluestein_single_fwd_len1755_dim1_dp_op_CI_CI ; -- Begin function bluestein_single_fwd_len1755_dim1_dp_op_CI_CI
	.globl	bluestein_single_fwd_len1755_dim1_dp_op_CI_CI
	.p2align	8
	.type	bluestein_single_fwd_len1755_dim1_dp_op_CI_CI,@function
bluestein_single_fwd_len1755_dim1_dp_op_CI_CI: ; @bluestein_single_fwd_len1755_dim1_dp_op_CI_CI
; %bb.0:
	s_load_dwordx4 s[8:11], s[4:5], 0x28
	v_mul_u32_u24_e32 v1, 0x231, v0
	v_add_u32_sdwa v6, s6, v1 dst_sel:DWORD dst_unused:UNUSED_PAD src0_sel:DWORD src1_sel:WORD_1
	v_mov_b32_e32 v7, 0
	s_waitcnt lgkmcnt(0)
	v_cmp_gt_u64_e32 vcc, s[8:9], v[6:7]
	s_and_saveexec_b64 s[0:1], vcc
	s_cbranch_execz .LBB0_15
; %bb.1:
	s_load_dwordx4 s[0:3], s[4:5], 0x18
	s_load_dwordx2 s[16:17], s[4:5], 0x0
	v_accvgpr_write_b32 a0, v6
	s_waitcnt lgkmcnt(0)
	s_load_dwordx4 s[12:15], s[0:1], 0x0
	s_movk_i32 s0, 0x75
	v_mul_lo_u16_sdwa v1, v1, s0 dst_sel:DWORD dst_unused:UNUSED_PAD src0_sel:WORD_1 src1_sel:DWORD
	v_sub_u16_e32 v89, v0, v1
	v_lshlrev_b32_e32 v88, 4, v89
	s_waitcnt lgkmcnt(0)
	v_mad_u64_u32 v[0:1], s[0:1], s14, v6, 0
	v_mov_b32_e32 v4, v1
	v_mad_u64_u32 v[2:3], s[0:1], s12, v89, 0
	v_mad_u64_u32 v[4:5], s[0:1], s15, v6, v[4:5]
	v_mov_b32_e32 v1, v4
	v_mov_b32_e32 v4, v3
	v_mad_u64_u32 v[4:5], s[0:1], s13, v89, v[4:5]
	v_lshlrev_b64 v[0:1], 4, v[0:1]
	v_mov_b32_e32 v3, v4
	v_mov_b32_e32 v4, s11
	v_add_co_u32_e32 v5, vcc, s10, v0
	v_addc_co_u32_e32 v4, vcc, v4, v1, vcc
	v_lshlrev_b64 v[0:1], 4, v[2:3]
	s_mul_i32 s6, s13, 0x87
	s_mul_hi_u32 s7, s12, 0x87
	v_add_co_u32_e32 v8, vcc, v5, v0
	v_mov_b32_e32 v0, s17
	v_add_co_u32_e64 v64, s[0:1], s16, v88
	s_add_i32 s7, s7, s6
	s_mul_i32 s6, s12, 0x87
	v_addc_co_u32_e32 v9, vcc, v4, v1, vcc
	v_addc_co_u32_e64 v65, vcc, 0, v0, s[0:1]
	s_lshl_b64 s[14:15], s[6:7], 4
	v_mov_b32_e32 v30, s15
	v_add_co_u32_e32 v10, vcc, s14, v8
	v_addc_co_u32_e32 v11, vcc, v9, v30, vcc
	v_add_co_u32_e32 v12, vcc, s14, v10
	v_addc_co_u32_e32 v13, vcc, v11, v30, vcc
	s_movk_i32 s6, 0x1000
	v_add_co_u32_e32 v32, vcc, s6, v64
	v_addc_co_u32_e32 v33, vcc, 0, v65, vcc
	v_add_co_u32_e32 v20, vcc, s14, v12
	v_addc_co_u32_e32 v21, vcc, v13, v30, vcc
	;; [unrolled: 2-line block ×3, first 2 shown]
	s_movk_i32 s6, 0x2000
	v_add_co_u32_e32 v36, vcc, s6, v64
	v_addc_co_u32_e32 v37, vcc, 0, v65, vcc
	global_load_dwordx4 v[4:7], v[8:9], off
	global_load_dwordx4 v[0:3], v[10:11], off
	global_load_dwordx4 v[110:113], v88, s[16:17]
	global_load_dwordx4 v[78:81], v88, s[16:17] offset:2160
	s_movk_i32 s6, 0x3000
	global_load_dwordx4 v[8:11], v[12:13], off
	global_load_dwordx4 v[98:101], v[32:33], off offset:224
	global_load_dwordx4 v[82:85], v[32:33], off offset:2384
	global_load_dwordx4 v[16:19], v[20:21], off
	s_nop 0
	global_load_dwordx4 v[12:15], v[22:23], off
	v_add_co_u32_e32 v20, vcc, s14, v22
	v_addc_co_u32_e32 v21, vcc, v23, v30, vcc
	global_load_dwordx4 v[22:25], v[20:21], off
	global_load_dwordx4 v[114:117], v[36:37], off offset:448
	global_load_dwordx4 v[90:93], v[36:37], off offset:2608
	v_add_co_u32_e32 v20, vcc, s14, v20
	v_addc_co_u32_e32 v21, vcc, v21, v30, vcc
	v_add_co_u32_e32 v38, vcc, s6, v64
	v_addc_co_u32_e32 v39, vcc, 0, v65, vcc
	global_load_dwordx4 v[26:29], v[20:21], off
	v_add_co_u32_e32 v20, vcc, s14, v20
	v_addc_co_u32_e32 v21, vcc, v21, v30, vcc
	global_load_dwordx4 v[46:49], v[20:21], off
	global_load_dwordx4 v[122:125], v[38:39], off offset:672
	global_load_dwordx4 v[94:97], v[38:39], off offset:2832
	v_add_co_u32_e32 v20, vcc, s14, v20
	v_addc_co_u32_e32 v21, vcc, v21, v30, vcc
	s_movk_i32 s6, 0x4000
	v_add_co_u32_e32 v40, vcc, s6, v64
	v_addc_co_u32_e32 v41, vcc, 0, v65, vcc
	global_load_dwordx4 v[50:53], v[20:21], off
	v_add_co_u32_e32 v20, vcc, s14, v20
	v_addc_co_u32_e32 v21, vcc, v21, v30, vcc
	global_load_dwordx4 v[54:57], v[20:21], off
	global_load_dwordx4 v[126:129], v[40:41], off offset:896
	global_load_dwordx4 v[102:105], v[40:41], off offset:3056
	v_add_co_u32_e32 v20, vcc, s14, v20
	v_addc_co_u32_e32 v21, vcc, v21, v30, vcc
	s_movk_i32 s6, 0x5000
	;; [unrolled: 11-line block ×3, first 2 shown]
	v_add_co_u32_e32 v44, vcc, s6, v64
	v_addc_co_u32_e32 v45, vcc, 0, v65, vcc
	global_load_dwordx4 v[70:73], v[20:21], off
	global_load_dwordx4 v[118:121], v[44:45], off offset:1344
	s_load_dwordx2 s[6:7], s[4:5], 0x38
	s_load_dwordx4 s[8:11], s[2:3], 0x0
	v_cmp_gt_u16_e32 vcc, 18, v89
	s_waitcnt vmcnt(23)
	v_mul_f64 v[74:75], v[6:7], v[112:113]
	v_fmac_f64_e32 v[74:75], v[4:5], v[110:111]
	v_mul_f64 v[4:5], v[4:5], v[112:113]
	v_fma_f64 v[76:77], v[6:7], v[110:111], -v[4:5]
	s_waitcnt vmcnt(22)
	v_mul_f64 v[4:5], v[2:3], v[80:81]
	v_fmac_f64_e32 v[4:5], v[0:1], v[78:79]
	v_mul_f64 v[0:1], v[0:1], v[80:81]
	v_fma_f64 v[6:7], v[2:3], v[78:79], -v[0:1]
	s_waitcnt vmcnt(20)
	v_mul_f64 v[0:1], v[10:11], v[100:101]
	v_mul_f64 v[2:3], v[8:9], v[100:101]
	v_fmac_f64_e32 v[0:1], v[8:9], v[98:99]
	v_fma_f64 v[2:3], v[10:11], v[98:99], -v[2:3]
	ds_write_b128 v88, v[0:3] offset:4320
	s_waitcnt vmcnt(18)
	v_mul_f64 v[0:1], v[18:19], v[84:85]
	v_mul_f64 v[2:3], v[16:17], v[84:85]
	v_fmac_f64_e32 v[0:1], v[16:17], v[82:83]
	v_fma_f64 v[2:3], v[18:19], v[82:83], -v[2:3]
	ds_write_b128 v88, v[0:3] offset:6480
	s_waitcnt vmcnt(15)
	v_mul_f64 v[0:1], v[14:15], v[116:117]
	v_mul_f64 v[2:3], v[12:13], v[116:117]
	v_fmac_f64_e32 v[0:1], v[12:13], v[114:115]
	v_fma_f64 v[2:3], v[14:15], v[114:115], -v[2:3]
	ds_write_b128 v88, v[0:3] offset:8640
	s_waitcnt vmcnt(14)
	v_mul_f64 v[0:1], v[24:25], v[92:93]
	v_mul_f64 v[2:3], v[22:23], v[92:93]
	v_fmac_f64_e32 v[0:1], v[22:23], v[90:91]
	v_fma_f64 v[2:3], v[24:25], v[90:91], -v[2:3]
	ds_write_b128 v88, v[0:3] offset:10800
	s_waitcnt vmcnt(11)
	v_mul_f64 v[0:1], v[28:29], v[124:125]
	v_mul_f64 v[2:3], v[26:27], v[124:125]
	v_fmac_f64_e32 v[0:1], v[26:27], v[122:123]
	v_fma_f64 v[2:3], v[28:29], v[122:123], -v[2:3]
	ds_write_b128 v88, v[0:3] offset:12960
	s_waitcnt vmcnt(10)
	v_mul_f64 v[0:1], v[48:49], v[96:97]
	v_mul_f64 v[2:3], v[46:47], v[96:97]
	v_fmac_f64_e32 v[0:1], v[46:47], v[94:95]
	v_fma_f64 v[2:3], v[48:49], v[94:95], -v[2:3]
	ds_write_b128 v88, v[0:3] offset:15120
	s_waitcnt vmcnt(7)
	v_mul_f64 v[0:1], v[52:53], v[128:129]
	v_mul_f64 v[2:3], v[50:51], v[128:129]
	v_fmac_f64_e32 v[0:1], v[50:51], v[126:127]
	v_fma_f64 v[2:3], v[52:53], v[126:127], -v[2:3]
	ds_write_b128 v88, v[0:3] offset:17280
	s_waitcnt vmcnt(6)
	v_mul_f64 v[0:1], v[56:57], v[104:105]
	v_mul_f64 v[2:3], v[54:55], v[104:105]
	v_fmac_f64_e32 v[0:1], v[54:55], v[102:103]
	v_fma_f64 v[2:3], v[56:57], v[102:103], -v[2:3]
	ds_write_b128 v88, v[0:3] offset:19440
	v_accvgpr_write_b32 a30, v110
	v_accvgpr_write_b32 a2, v78
	;; [unrolled: 1-line block ×5, first 2 shown]
	s_waitcnt vmcnt(3)
	v_mul_f64 v[0:1], v[60:61], v[132:133]
	v_mul_f64 v[2:3], v[58:59], v[132:133]
	v_fmac_f64_e32 v[0:1], v[58:59], v[130:131]
	v_fma_f64 v[2:3], v[60:61], v[130:131], -v[2:3]
	ds_write_b128 v88, v[0:3] offset:21600
	s_waitcnt vmcnt(2)
	v_mul_f64 v[0:1], v[68:69], v[108:109]
	v_mul_f64 v[2:3], v[66:67], v[108:109]
	v_fmac_f64_e32 v[0:1], v[66:67], v[106:107]
	v_fma_f64 v[2:3], v[68:69], v[106:107], -v[2:3]
	v_accvgpr_write_b32 a10, v90
	v_accvgpr_write_b32 a42, v122
	;; [unrolled: 1-line block ×7, first 2 shown]
	ds_write_b128 v88, v[0:3] offset:23760
	s_waitcnt vmcnt(0)
	v_mul_f64 v[0:1], v[72:73], v[120:121]
	v_mul_f64 v[2:3], v[70:71], v[120:121]
	v_accvgpr_write_b32 a38, v118
	v_accvgpr_write_b32 a31, v111
	;; [unrolled: 1-line block ×37, first 2 shown]
	v_fmac_f64_e32 v[0:1], v[70:71], v[118:119]
	v_accvgpr_write_b32 a39, v119
	v_accvgpr_write_b32 a40, v120
	;; [unrolled: 1-line block ×3, first 2 shown]
	v_fma_f64 v[2:3], v[72:73], v[118:119], -v[2:3]
	ds_write_b128 v88, v[74:77]
	ds_write_b128 v88, v[4:7] offset:2160
	ds_write_b128 v88, v[0:3] offset:25920
	s_and_saveexec_b64 s[18:19], vcc
	s_cbranch_execz .LBB0_3
; %bb.2:
	v_mov_b32_e32 v0, 0xffffa210
	v_mad_u64_u32 v[4:5], s[2:3], s12, v0, v[20:21]
	s_mul_i32 s2, s13, 0xffffa210
	s_sub_i32 s2, s2, s12
	v_add_u32_e32 v5, s2, v5
	v_mov_b32_e32 v86, s15
	v_add_co_u32_e64 v16, s[2:3], s14, v4
	v_addc_co_u32_e64 v17, s[2:3], v5, v86, s[2:3]
	global_load_dwordx4 v[0:3], v[4:5], off
	v_add_co_u32_e64 v20, s[2:3], s14, v16
	global_load_dwordx4 v[4:7], v[16:17], off
	global_load_dwordx4 v[12:15], v[64:65], off offset:1872
	global_load_dwordx4 v[8:11], v[64:65], off offset:4032
	v_addc_co_u32_e64 v21, s[2:3], v17, v86, s[2:3]
	v_add_co_u32_e64 v34, s[2:3], s14, v20
	global_load_dwordx4 v[16:19], v[20:21], off
	v_addc_co_u32_e64 v35, s[2:3], v21, v86, s[2:3]
	global_load_dwordx4 v[20:23], v[34:35], off
	global_load_dwordx4 v[28:31], v[32:33], off offset:2096
	global_load_dwordx4 v[24:27], v[36:37], off offset:160
	v_add_co_u32_e64 v46, s[2:3], s14, v34
	v_addc_co_u32_e64 v47, s[2:3], v35, v86, s[2:3]
	v_add_co_u32_e64 v58, s[2:3], s14, v46
	global_load_dwordx4 v[32:35], v[46:47], off
	v_addc_co_u32_e64 v59, s[2:3], v47, v86, s[2:3]
	global_load_dwordx4 v[46:49], v[58:59], off
	global_load_dwordx4 v[50:53], v[36:37], off offset:2320
	global_load_dwordx4 v[54:57], v[38:39], off offset:384
	v_add_co_u32_e64 v36, s[2:3], s14, v58
	v_addc_co_u32_e64 v37, s[2:3], v59, v86, s[2:3]
	global_load_dwordx4 v[58:61], v[36:37], off
	v_add_co_u32_e64 v62, s[2:3], s14, v36
	v_addc_co_u32_e64 v63, s[2:3], v37, v86, s[2:3]
	global_load_dwordx4 v[66:69], v[62:63], off
	global_load_dwordx4 v[70:73], v[38:39], off offset:2544
                                        ; kill: killed $vgpr38 killed $vgpr39
	s_nop 0
	global_load_dwordx4 v[36:39], v[40:41], off offset:608
	v_add_co_u32_e64 v62, s[2:3], s14, v62
	v_addc_co_u32_e64 v63, s[2:3], v63, v86, s[2:3]
	global_load_dwordx4 v[74:77], v[62:63], off
	v_add_co_u32_e64 v62, s[2:3], s14, v62
	v_addc_co_u32_e64 v63, s[2:3], v63, v86, s[2:3]
	global_load_dwordx4 v[78:81], v[40:41], off offset:2768
	global_load_dwordx4 v[82:85], v[62:63], off
	global_load_dwordx4 v[90:93], v[42:43], off offset:832
	v_add_co_u32_e64 v62, s[2:3], s14, v62
	v_addc_co_u32_e64 v63, s[2:3], v63, v86, s[2:3]
	global_load_dwordx4 v[94:97], v[62:63], off
	s_nop 0
	global_load_dwordx4 v[40:43], v[42:43], off offset:2992
	v_add_co_u32_e64 v62, s[2:3], s14, v62
	v_addc_co_u32_e64 v63, s[2:3], v63, v86, s[2:3]
	global_load_dwordx4 v[98:101], v[62:63], off
	global_load_dwordx4 v[102:105], v[44:45], off offset:1056
	v_add_co_u32_e64 v62, s[2:3], s14, v62
	v_addc_co_u32_e64 v63, s[2:3], v63, v86, s[2:3]
	global_load_dwordx4 v[106:109], v[44:45], off offset:3216
	global_load_dwordx4 v[110:113], v[62:63], off
	s_waitcnt vmcnt(23)
	v_mul_f64 v[114:115], v[2:3], v[14:15]
	v_mul_f64 v[14:15], v[0:1], v[14:15]
	v_fmac_f64_e32 v[114:115], v[0:1], v[12:13]
	v_fma_f64 v[116:117], v[2:3], v[12:13], -v[14:15]
	s_waitcnt vmcnt(22)
	v_mul_f64 v[0:1], v[6:7], v[10:11]
	v_mul_f64 v[2:3], v[4:5], v[10:11]
	v_fmac_f64_e32 v[0:1], v[4:5], v[8:9]
	v_fma_f64 v[2:3], v[6:7], v[8:9], -v[2:3]
	ds_write_b128 v88, v[0:3] offset:4032
	s_waitcnt vmcnt(19)
	v_mul_f64 v[0:1], v[18:19], v[30:31]
	v_mul_f64 v[2:3], v[16:17], v[30:31]
	v_fmac_f64_e32 v[0:1], v[16:17], v[28:29]
	v_fma_f64 v[2:3], v[18:19], v[28:29], -v[2:3]
	ds_write_b128 v88, v[0:3] offset:6192
	;; [unrolled: 6-line block ×12, first 2 shown]
	ds_write_b128 v88, v[0:3] offset:27792
.LBB0_3:
	s_or_b64 exec, exec, s[18:19]
	s_waitcnt lgkmcnt(0)
	s_barrier
	ds_read_b128 v[36:39], v88
	ds_read_b128 v[44:47], v88 offset:2160
	ds_read_b128 v[32:35], v88 offset:4320
	;; [unrolled: 1-line block ×12, first 2 shown]
	s_load_dwordx2 s[4:5], s[4:5], 0x8
                                        ; implicit-def: $vgpr0_vgpr1
                                        ; implicit-def: $vgpr4_vgpr5
                                        ; implicit-def: $vgpr96_vgpr97
                                        ; implicit-def: $vgpr100_vgpr101
                                        ; implicit-def: $vgpr104_vgpr105
                                        ; implicit-def: $vgpr108_vgpr109
                                        ; implicit-def: $vgpr112_vgpr113
                                        ; implicit-def: $vgpr116_vgpr117
                                        ; implicit-def: $vgpr120_vgpr121
                                        ; implicit-def: $vgpr124_vgpr125
                                        ; implicit-def: $vgpr128_vgpr129
                                        ; implicit-def: $vgpr132_vgpr133
                                        ; implicit-def: $vgpr136_vgpr137
	s_and_saveexec_b64 s[2:3], vcc
	s_cbranch_execz .LBB0_5
; %bb.4:
	ds_read_b128 v[0:3], v88 offset:1872
	ds_read_b128 v[4:7], v88 offset:4032
	;; [unrolled: 1-line block ×13, first 2 shown]
.LBB0_5:
	s_or_b64 exec, exec, s[2:3]
	s_waitcnt lgkmcnt(0)
	v_add_f64 v[66:67], v[38:39], v[46:47]
	v_add_f64 v[62:63], v[36:37], v[44:45]
	v_add_f64 v[66:67], v[66:67], v[34:35]
	v_add_f64 v[62:63], v[62:63], v[32:33]
	v_add_f64 v[66:67], v[66:67], v[26:27]
	v_add_f64 v[62:63], v[62:63], v[24:25]
	v_add_f64 v[66:67], v[66:67], v[18:19]
	v_add_f64 v[62:63], v[62:63], v[16:17]
	v_add_f64 v[66:67], v[66:67], v[10:11]
	v_add_f64 v[62:63], v[62:63], v[8:9]
	v_add_f64 v[66:67], v[66:67], v[54:55]
	v_add_f64 v[62:63], v[62:63], v[52:53]
	v_add_f64 v[66:67], v[66:67], v[58:59]
	v_add_f64 v[62:63], v[62:63], v[56:57]
	v_add_f64 v[66:67], v[66:67], v[14:15]
	v_add_f64 v[62:63], v[62:63], v[12:13]
	v_add_f64 v[66:67], v[66:67], v[22:23]
	s_movk_i32 s16, 0x75
	v_add_f64 v[62:63], v[62:63], v[20:21]
	v_add_f64 v[66:67], v[66:67], v[30:31]
	v_add_co_u32_e64 v60, s[2:3], s16, v89
	v_add_f64 v[62:63], v[62:63], v[28:29]
	v_add_f64 v[66:67], v[66:67], v[42:43]
	s_mov_b32 s44, 0x4267c47c
	s_mov_b32 s28, 0x42a4c3d2
	;; [unrolled: 1-line block ×6, first 2 shown]
	v_add_f64 v[62:63], v[62:63], v[40:41]
	v_add_f64 v[142:143], v[66:67], v[50:51]
	;; [unrolled: 1-line block ×3, first 2 shown]
	v_add_f64 v[46:47], v[46:47], -v[50:51]
	s_mov_b32 s45, 0xbfddbe06
	s_mov_b32 s2, 0xe00740e9
	;; [unrolled: 1-line block ×12, first 2 shown]
	v_add_f64 v[140:141], v[62:63], v[48:49]
	v_add_f64 v[62:63], v[44:45], v[48:49]
	v_add_f64 v[44:45], v[44:45], -v[48:49]
	v_mul_f64 v[48:49], v[46:47], s[44:45]
	s_mov_b32 s3, 0x3fec55a7
	v_mul_f64 v[72:73], v[46:47], s[28:29]
	s_mov_b32 s13, 0x3fe22d96
	;; [unrolled: 2-line block ×6, first 2 shown]
	v_fma_f64 v[50:51], v[62:63], s[2:3], -v[48:49]
	v_mul_f64 v[68:69], v[44:45], s[44:45]
	v_fmac_f64_e32 v[48:49], s[2:3], v[62:63]
	v_fma_f64 v[74:75], v[62:63], s[12:13], -v[72:73]
	v_mul_f64 v[76:77], v[44:45], s[28:29]
	v_fmac_f64_e32 v[72:73], s[12:13], v[62:63]
	;; [unrolled: 3-line block ×6, first 2 shown]
	v_add_f64 v[50:51], v[36:37], v[50:51]
	v_fma_f64 v[70:71], s[2:3], v[66:67], v[68:69]
	v_add_f64 v[48:49], v[36:37], v[48:49]
	v_fma_f64 v[68:69], v[66:67], s[2:3], -v[68:69]
	v_add_f64 v[74:75], v[36:37], v[74:75]
	v_fma_f64 v[78:79], s[12:13], v[66:67], v[76:77]
	v_add_f64 v[72:73], v[36:37], v[72:73]
	v_fma_f64 v[76:77], v[66:67], s[12:13], -v[76:77]
	;; [unrolled: 4-line block ×6, first 2 shown]
	v_add_f64 v[46:47], v[34:35], v[42:43]
	v_add_f64 v[34:35], v[34:35], -v[42:43]
	v_add_f64 v[70:71], v[38:39], v[70:71]
	v_add_f64 v[68:69], v[38:39], v[68:69]
	;; [unrolled: 1-line block ×13, first 2 shown]
	v_add_f64 v[32:33], v[32:33], -v[40:41]
	v_mul_f64 v[40:41], v[34:35], s[28:29]
	v_fma_f64 v[42:43], v[44:45], s[12:13], -v[40:41]
	v_add_f64 v[42:43], v[42:43], v[50:51]
	v_mul_f64 v[50:51], v[32:33], s[28:29]
	v_fmac_f64_e32 v[40:41], s[12:13], v[44:45]
	v_fma_f64 v[62:63], s[12:13], v[46:47], v[50:51]
	v_add_f64 v[40:41], v[40:41], v[48:49]
	v_fma_f64 v[48:49], v[46:47], s[12:13], -v[50:51]
	v_mul_f64 v[50:51], v[34:35], s[24:25]
	v_add_f64 v[48:49], v[48:49], v[68:69]
	v_fma_f64 v[66:67], v[44:45], s[18:19], -v[50:51]
	v_mul_f64 v[68:69], v[32:33], s[24:25]
	v_fmac_f64_e32 v[50:51], s[18:19], v[44:45]
	v_add_f64 v[62:63], v[62:63], v[70:71]
	v_fma_f64 v[70:71], s[18:19], v[46:47], v[68:69]
	v_add_f64 v[50:51], v[50:51], v[72:73]
	v_fma_f64 v[68:69], v[46:47], s[18:19], -v[68:69]
	v_mul_f64 v[72:73], v[34:35], s[30:31]
	v_add_f64 v[66:67], v[66:67], v[74:75]
	v_add_f64 v[68:69], v[68:69], v[76:77]
	v_fma_f64 v[74:75], v[44:45], s[22:23], -v[72:73]
	v_mul_f64 v[76:77], v[32:33], s[30:31]
	v_fmac_f64_e32 v[72:73], s[22:23], v[44:45]
	s_mov_b32 s41, 0x3fe5384d
	s_mov_b32 s40, s26
	v_add_f64 v[70:71], v[70:71], v[78:79]
	v_fma_f64 v[78:79], s[22:23], v[46:47], v[76:77]
	v_add_f64 v[72:73], v[72:73], v[80:81]
	v_fma_f64 v[76:77], v[46:47], s[22:23], -v[76:77]
	v_mul_f64 v[80:81], v[34:35], s[40:41]
	v_add_f64 v[74:75], v[74:75], v[82:83]
	v_add_f64 v[76:77], v[76:77], v[84:85]
	v_fma_f64 v[82:83], v[44:45], s[20:21], -v[80:81]
	v_mul_f64 v[84:85], v[32:33], s[40:41]
	v_fmac_f64_e32 v[80:81], s[20:21], v[44:45]
	s_mov_b32 s35, 0x3fefc445
	s_mov_b32 s34, s36
	v_add_f64 v[78:79], v[78:79], v[86:87]
	v_fma_f64 v[86:87], s[20:21], v[46:47], v[84:85]
	v_add_f64 v[80:81], v[80:81], v[90:91]
	v_fma_f64 v[84:85], v[46:47], s[20:21], -v[84:85]
	v_mul_f64 v[90:91], v[34:35], s[34:35]
	s_mov_b32 s39, 0x3fddbe06
	s_mov_b32 s38, s44
	v_add_f64 v[82:83], v[82:83], v[92:93]
	v_add_f64 v[84:85], v[84:85], v[94:95]
	v_fma_f64 v[92:93], v[44:45], s[14:15], -v[90:91]
	v_mul_f64 v[94:95], v[32:33], s[34:35]
	v_mul_f64 v[32:33], v[32:33], s[38:39]
	v_add_f64 v[92:93], v[92:93], v[148:149]
	v_fmac_f64_e32 v[90:91], s[14:15], v[44:45]
	v_mul_f64 v[34:35], v[34:35], s[38:39]
	v_fma_f64 v[148:149], s[2:3], v[46:47], v[32:33]
	v_fma_f64 v[32:33], v[46:47], s[2:3], -v[32:33]
	v_add_f64 v[90:91], v[90:91], v[146:147]
	v_fma_f64 v[146:147], v[44:45], s[2:3], -v[34:35]
	v_fmac_f64_e32 v[34:35], s[2:3], v[44:45]
	v_add_f64 v[32:33], v[32:33], v[38:39]
	v_add_f64 v[38:39], v[26:27], v[30:31]
	v_add_f64 v[26:27], v[26:27], -v[30:31]
	v_add_f64 v[34:35], v[34:35], v[36:37]
	v_add_f64 v[36:37], v[24:25], v[28:29]
	v_add_f64 v[24:25], v[24:25], -v[28:29]
	v_mul_f64 v[28:29], v[26:27], s[36:37]
	v_fma_f64 v[30:31], v[36:37], s[14:15], -v[28:29]
	v_add_f64 v[30:31], v[30:31], v[42:43]
	v_mul_f64 v[42:43], v[24:25], s[36:37]
	v_fmac_f64_e32 v[28:29], s[14:15], v[36:37]
	v_fma_f64 v[44:45], s[14:15], v[38:39], v[42:43]
	v_add_f64 v[28:29], v[28:29], v[40:41]
	v_fma_f64 v[40:41], v[38:39], s[14:15], -v[42:43]
	v_mul_f64 v[42:43], v[26:27], s[30:31]
	v_add_f64 v[86:87], v[86:87], v[144:145]
	v_fma_f64 v[144:145], s[14:15], v[46:47], v[94:95]
	v_fma_f64 v[94:95], v[46:47], s[14:15], -v[94:95]
	v_fma_f64 v[46:47], v[36:37], s[22:23], -v[42:43]
	v_fmac_f64_e32 v[42:43], s[22:23], v[36:37]
	s_mov_b32 s49, 0x3fedeba7
	s_mov_b32 s48, s24
	v_add_f64 v[40:41], v[40:41], v[48:49]
	v_mul_f64 v[48:49], v[24:25], s[30:31]
	v_add_f64 v[42:43], v[42:43], v[50:51]
	v_mul_f64 v[50:51], v[26:27], s[48:49]
	v_add_f64 v[44:45], v[44:45], v[62:63]
	v_add_f64 v[46:47], v[46:47], v[66:67]
	v_fma_f64 v[62:63], s[22:23], v[38:39], v[48:49]
	v_fma_f64 v[48:49], v[38:39], s[22:23], -v[48:49]
	v_fma_f64 v[66:67], v[36:37], s[18:19], -v[50:51]
	v_fmac_f64_e32 v[50:51], s[18:19], v[36:37]
	v_add_f64 v[48:49], v[48:49], v[68:69]
	v_mul_f64 v[68:69], v[24:25], s[48:49]
	v_add_f64 v[50:51], v[50:51], v[72:73]
	v_mul_f64 v[72:73], v[26:27], s[38:39]
	v_add_f64 v[62:63], v[62:63], v[70:71]
	v_add_f64 v[66:67], v[66:67], v[74:75]
	v_fma_f64 v[70:71], s[18:19], v[38:39], v[68:69]
	v_fma_f64 v[68:69], v[38:39], s[18:19], -v[68:69]
	v_fma_f64 v[74:75], v[36:37], s[2:3], -v[72:73]
	v_fmac_f64_e32 v[72:73], s[2:3], v[36:37]
	;; [unrolled: 10-line block ×3, first 2 shown]
	v_mul_f64 v[26:27], v[26:27], s[26:27]
	v_add_f64 v[76:77], v[76:77], v[84:85]
	v_mul_f64 v[84:85], v[24:25], s[28:29]
	v_add_f64 v[80:81], v[80:81], v[90:91]
	v_fma_f64 v[90:91], v[36:37], s[20:21], -v[26:27]
	v_mul_f64 v[24:25], v[24:25], s[26:27]
	v_fmac_f64_e32 v[26:27], s[20:21], v[36:37]
	v_add_f64 v[82:83], v[82:83], v[92:93]
	v_fma_f64 v[92:93], s[20:21], v[38:39], v[24:25]
	v_add_f64 v[26:27], v[26:27], v[34:35]
	v_fma_f64 v[24:25], v[38:39], s[20:21], -v[24:25]
	v_add_f64 v[34:35], v[18:19], v[22:23]
	v_add_f64 v[18:19], v[18:19], -v[22:23]
	v_add_f64 v[24:25], v[24:25], v[32:33]
	v_add_f64 v[32:33], v[16:17], v[20:21]
	v_add_f64 v[16:17], v[16:17], -v[20:21]
	v_mul_f64 v[20:21], v[18:19], s[24:25]
	v_fma_f64 v[22:23], v[32:33], s[18:19], -v[20:21]
	v_add_f64 v[22:23], v[22:23], v[30:31]
	v_mul_f64 v[30:31], v[16:17], s[24:25]
	v_fmac_f64_e32 v[20:21], s[18:19], v[32:33]
	v_fma_f64 v[36:37], s[18:19], v[34:35], v[30:31]
	v_add_f64 v[20:21], v[20:21], v[28:29]
	v_fma_f64 v[28:29], v[34:35], s[18:19], -v[30:31]
	v_mul_f64 v[30:31], v[18:19], s[40:41]
	v_add_f64 v[78:79], v[78:79], v[86:87]
	v_fma_f64 v[86:87], s[12:13], v[38:39], v[84:85]
	v_fma_f64 v[84:85], v[38:39], s[12:13], -v[84:85]
	v_fma_f64 v[38:39], v[32:33], s[20:21], -v[30:31]
	v_fmac_f64_e32 v[30:31], s[20:21], v[32:33]
	v_add_f64 v[28:29], v[28:29], v[40:41]
	v_mul_f64 v[40:41], v[16:17], s[40:41]
	v_add_f64 v[30:31], v[30:31], v[42:43]
	v_mul_f64 v[42:43], v[18:19], s[38:39]
	v_add_f64 v[36:37], v[36:37], v[44:45]
	v_add_f64 v[38:39], v[38:39], v[46:47]
	v_fma_f64 v[44:45], s[20:21], v[34:35], v[40:41]
	v_fma_f64 v[40:41], v[34:35], s[20:21], -v[40:41]
	v_fma_f64 v[46:47], v[32:33], s[2:3], -v[42:43]
	v_fmac_f64_e32 v[42:43], s[2:3], v[32:33]
	v_add_f64 v[40:41], v[40:41], v[48:49]
	v_mul_f64 v[48:49], v[16:17], s[38:39]
	v_add_f64 v[42:43], v[42:43], v[50:51]
	v_mul_f64 v[50:51], v[18:19], s[36:37]
	v_add_f64 v[44:45], v[44:45], v[62:63]
	v_add_f64 v[46:47], v[46:47], v[66:67]
	v_fma_f64 v[62:63], s[2:3], v[34:35], v[48:49]
	v_fma_f64 v[48:49], v[34:35], s[2:3], -v[48:49]
	v_fma_f64 v[66:67], v[32:33], s[14:15], -v[50:51]
	v_fmac_f64_e32 v[50:51], s[14:15], v[32:33]
	s_mov_b32 s47, 0x3fcea1e5
	s_mov_b32 s46, s30
	v_add_f64 v[48:49], v[48:49], v[68:69]
	v_mul_f64 v[68:69], v[16:17], s[36:37]
	v_add_f64 v[50:51], v[50:51], v[72:73]
	v_mul_f64 v[72:73], v[18:19], s[46:47]
	s_mov_b32 s43, 0x3fea55e2
	s_mov_b32 s42, s28
	v_add_f64 v[62:63], v[62:63], v[70:71]
	v_add_f64 v[66:67], v[66:67], v[74:75]
	v_fma_f64 v[70:71], s[14:15], v[34:35], v[68:69]
	v_fma_f64 v[68:69], v[34:35], s[14:15], -v[68:69]
	v_fma_f64 v[74:75], v[32:33], s[22:23], -v[72:73]
	v_fmac_f64_e32 v[72:73], s[22:23], v[32:33]
	v_mul_f64 v[18:19], v[18:19], s[42:43]
	v_add_f64 v[68:69], v[68:69], v[76:77]
	v_mul_f64 v[76:77], v[16:17], s[46:47]
	v_add_f64 v[72:73], v[72:73], v[80:81]
	v_fma_f64 v[80:81], v[32:33], s[12:13], -v[18:19]
	v_mul_f64 v[16:17], v[16:17], s[42:43]
	v_fmac_f64_e32 v[18:19], s[12:13], v[32:33]
	v_add_f64 v[74:75], v[74:75], v[82:83]
	v_fma_f64 v[82:83], s[12:13], v[34:35], v[16:17]
	v_add_f64 v[18:19], v[18:19], v[26:27]
	v_fma_f64 v[16:17], v[34:35], s[12:13], -v[16:17]
	v_add_f64 v[26:27], v[10:11], v[14:15]
	v_add_f64 v[10:11], v[10:11], -v[14:15]
	v_add_f64 v[16:17], v[16:17], v[24:25]
	v_add_f64 v[24:25], v[8:9], v[12:13]
	v_add_f64 v[8:9], v[8:9], -v[12:13]
	v_mul_f64 v[12:13], v[10:11], s[26:27]
	v_fma_f64 v[14:15], v[24:25], s[20:21], -v[12:13]
	v_add_f64 v[14:15], v[14:15], v[22:23]
	v_mul_f64 v[22:23], v[8:9], s[26:27]
	v_fmac_f64_e32 v[12:13], s[20:21], v[24:25]
	v_fma_f64 v[32:33], s[20:21], v[26:27], v[22:23]
	v_add_f64 v[12:13], v[12:13], v[20:21]
	v_fma_f64 v[20:21], v[26:27], s[20:21], -v[22:23]
	v_mul_f64 v[22:23], v[10:11], s[34:35]
	v_add_f64 v[70:71], v[70:71], v[78:79]
	v_fma_f64 v[78:79], s[22:23], v[34:35], v[76:77]
	v_fma_f64 v[76:77], v[34:35], s[22:23], -v[76:77]
	v_add_f64 v[20:21], v[20:21], v[28:29]
	v_fma_f64 v[28:29], v[24:25], s[14:15], -v[22:23]
	v_mul_f64 v[34:35], v[8:9], s[34:35]
	v_fmac_f64_e32 v[22:23], s[14:15], v[24:25]
	v_add_f64 v[32:33], v[32:33], v[36:37]
	v_fma_f64 v[36:37], s[14:15], v[26:27], v[34:35]
	v_add_f64 v[22:23], v[22:23], v[30:31]
	v_fma_f64 v[30:31], v[26:27], s[14:15], -v[34:35]
	v_mul_f64 v[34:35], v[10:11], s[28:29]
	v_add_f64 v[28:29], v[28:29], v[38:39]
	v_add_f64 v[30:31], v[30:31], v[40:41]
	v_fma_f64 v[38:39], v[24:25], s[12:13], -v[34:35]
	v_mul_f64 v[40:41], v[8:9], s[28:29]
	v_fmac_f64_e32 v[34:35], s[12:13], v[24:25]
	v_add_f64 v[42:43], v[34:35], v[42:43]
	v_fma_f64 v[34:35], v[26:27], s[12:13], -v[40:41]
	v_add_f64 v[36:37], v[36:37], v[44:45]
	v_fma_f64 v[44:45], s[12:13], v[26:27], v[40:41]
	v_add_f64 v[40:41], v[34:35], v[48:49]
	v_mul_f64 v[34:35], v[10:11], s[46:47]
	v_add_f64 v[38:39], v[38:39], v[46:47]
	v_fma_f64 v[46:47], v[24:25], s[22:23], -v[34:35]
	v_mul_f64 v[48:49], v[8:9], s[46:47]
	v_fmac_f64_e32 v[34:35], s[22:23], v[24:25]
	v_add_f64 v[50:51], v[34:35], v[50:51]
	v_fma_f64 v[34:35], v[26:27], s[22:23], -v[48:49]
	v_add_f64 v[94:95], v[94:95], v[150:151]
	v_add_f64 v[44:45], v[44:45], v[62:63]
	v_fma_f64 v[62:63], s[22:23], v[26:27], v[48:49]
	v_add_f64 v[48:49], v[34:35], v[68:69]
	v_mul_f64 v[34:35], v[10:11], s[38:39]
	v_add_f64 v[146:147], v[146:147], v[154:155]
	v_add_f64 v[84:85], v[84:85], v[94:95]
	v_add_f64 v[46:47], v[46:47], v[66:67]
	v_fma_f64 v[66:67], v[24:25], s[2:3], -v[34:35]
	v_mul_f64 v[68:69], v[8:9], s[38:39]
	v_fmac_f64_e32 v[34:35], s[2:3], v[24:25]
	v_add_f64 v[148:149], v[148:149], v[156:157]
	v_add_f64 v[90:91], v[90:91], v[146:147]
	;; [unrolled: 1-line block ×4, first 2 shown]
	v_fma_f64 v[34:35], v[26:27], s[2:3], -v[68:69]
	v_mul_f64 v[10:11], v[10:11], s[24:25]
	v_add_f64 v[144:145], v[144:145], v[152:153]
	v_add_f64 v[92:93], v[92:93], v[148:149]
	;; [unrolled: 1-line block ×4, first 2 shown]
	v_fma_f64 v[70:71], s[2:3], v[26:27], v[68:69]
	v_add_f64 v[68:69], v[34:35], v[76:77]
	v_fma_f64 v[34:35], v[24:25], s[18:19], -v[10:11]
	v_mul_f64 v[8:9], v[8:9], s[24:25]
	v_add_f64 v[86:87], v[86:87], v[144:145]
	v_add_f64 v[82:83], v[82:83], v[92:93]
	;; [unrolled: 1-line block ×4, first 2 shown]
	v_fma_f64 v[34:35], s[18:19], v[26:27], v[8:9]
	v_fma_f64 v[8:9], v[26:27], s[18:19], -v[8:9]
	v_add_f64 v[84:85], v[54:55], v[58:59]
	v_add_f64 v[54:55], v[54:55], -v[58:59]
	v_add_f64 v[78:79], v[78:79], v[86:87]
	v_add_f64 v[76:77], v[34:35], v[82:83]
	v_fmac_f64_e32 v[10:11], s[18:19], v[24:25]
	v_add_f64 v[80:81], v[8:9], v[16:17]
	v_add_f64 v[82:83], v[52:53], v[56:57]
	v_mul_f64 v[8:9], v[54:55], s[30:31]
	v_add_f64 v[70:71], v[70:71], v[78:79]
	v_add_f64 v[78:79], v[10:11], v[18:19]
	v_add_f64 v[52:53], v[52:53], -v[56:57]
	v_fma_f64 v[10:11], v[82:83], s[22:23], -v[8:9]
	v_add_f64 v[16:17], v[10:11], v[14:15]
	v_mul_f64 v[10:11], v[52:53], s[30:31]
	v_fmac_f64_e32 v[8:9], s[22:23], v[82:83]
	v_fma_f64 v[14:15], s[22:23], v[84:85], v[10:11]
	v_add_f64 v[8:9], v[8:9], v[12:13]
	v_mul_f64 v[12:13], v[54:55], s[38:39]
	v_add_f64 v[18:19], v[14:15], v[32:33]
	v_fma_f64 v[14:15], v[82:83], s[2:3], -v[12:13]
	v_fma_f64 v[10:11], v[84:85], s[22:23], -v[10:11]
	v_add_f64 v[24:25], v[14:15], v[28:29]
	v_mul_f64 v[14:15], v[52:53], s[38:39]
	v_add_f64 v[10:11], v[10:11], v[20:21]
	v_fma_f64 v[20:21], s[2:3], v[84:85], v[14:15]
	v_add_f64 v[26:27], v[20:21], v[36:37]
	v_fmac_f64_e32 v[12:13], s[2:3], v[82:83]
	v_mul_f64 v[20:21], v[54:55], s[26:27]
	v_add_f64 v[12:13], v[12:13], v[22:23]
	v_fma_f64 v[22:23], v[82:83], s[20:21], -v[20:21]
	v_add_f64 v[32:33], v[22:23], v[38:39]
	v_mul_f64 v[22:23], v[52:53], s[26:27]
	v_fma_f64 v[28:29], s[20:21], v[84:85], v[22:23]
	v_fma_f64 v[22:23], v[84:85], s[20:21], -v[22:23]
	v_fmac_f64_e32 v[20:21], s[20:21], v[82:83]
	v_add_f64 v[22:23], v[22:23], v[40:41]
	v_mul_f64 v[40:41], v[54:55], s[24:25]
	v_fma_f64 v[14:15], v[84:85], s[2:3], -v[14:15]
	v_add_f64 v[34:35], v[28:29], v[44:45]
	v_add_f64 v[20:21], v[20:21], v[42:43]
	v_mul_f64 v[28:29], v[54:55], s[42:43]
	v_fma_f64 v[42:43], v[82:83], s[18:19], -v[40:41]
	v_add_f64 v[14:15], v[14:15], v[30:31]
	v_fma_f64 v[30:31], v[82:83], s[12:13], -v[28:29]
	v_add_f64 v[44:45], v[42:43], v[66:67]
	v_mul_f64 v[42:43], v[52:53], s[24:25]
	v_add_f64 v[66:67], v[4:5], -v[136:137]
	v_add_f64 v[36:37], v[30:31], v[46:47]
	v_mul_f64 v[30:31], v[52:53], s[42:43]
	v_fma_f64 v[46:47], s[18:19], v[84:85], v[42:43]
	v_fma_f64 v[42:43], v[84:85], s[18:19], -v[42:43]
	v_add_f64 v[144:145], v[6:7], v[138:139]
	v_mul_f64 v[146:147], v[66:67], s[24:25]
	v_fma_f64 v[38:39], s[12:13], v[84:85], v[30:31]
	v_add_f64 v[42:43], v[42:43], v[68:69]
	v_add_f64 v[68:69], v[6:7], -v[138:139]
	v_fma_f64 v[148:149], s[18:19], v[144:145], v[146:147]
	v_fma_f64 v[146:147], v[144:145], s[18:19], -v[146:147]
	v_add_f64 v[38:39], v[38:39], v[62:63]
	v_add_f64 v[62:63], v[4:5], v[136:137]
	v_add_f64 v[156:157], v[2:3], v[146:147]
	v_mul_f64 v[146:147], v[68:69], s[26:27]
	v_fma_f64 v[30:31], v[84:85], s[12:13], -v[30:31]
	v_mul_f64 v[54:55], v[54:55], s[34:35]
	v_add_f64 v[154:155], v[2:3], v[148:149]
	v_fma_f64 v[148:149], v[62:63], s[20:21], -v[146:147]
	v_fmac_f64_e32 v[28:29], s[12:13], v[82:83]
	v_add_f64 v[30:31], v[30:31], v[48:49]
	v_fma_f64 v[48:49], v[82:83], s[14:15], -v[54:55]
	v_mul_f64 v[56:57], v[52:53], s[34:35]
	v_fmac_f64_e32 v[54:55], s[14:15], v[82:83]
	v_add_f64 v[158:159], v[0:1], v[148:149]
	v_mul_f64 v[148:149], v[66:67], s[26:27]
	v_fmac_f64_e32 v[146:147], s[20:21], v[62:63]
	v_add_f64 v[28:29], v[28:29], v[50:51]
	v_fmac_f64_e32 v[40:41], s[18:19], v[82:83]
	v_add_f64 v[48:49], v[48:49], v[74:75]
	v_fma_f64 v[50:51], s[14:15], v[84:85], v[56:57]
	v_add_f64 v[52:53], v[54:55], v[78:79]
	v_fma_f64 v[54:55], v[84:85], s[14:15], -v[56:57]
	v_mul_f64 v[56:57], v[68:69], s[44:45]
	v_mul_f64 v[74:75], v[68:69], s[28:29]
	;; [unrolled: 1-line block ×4, first 2 shown]
	v_add_f64 v[162:163], v[0:1], v[146:147]
	v_fma_f64 v[146:147], v[144:145], s[20:21], -v[148:149]
	v_mul_f64 v[68:69], v[68:69], s[30:31]
	v_mul_f64 v[58:59], v[66:67], s[44:45]
	;; [unrolled: 1-line block ×4, first 2 shown]
	v_add_f64 v[164:165], v[2:3], v[146:147]
	v_fma_f64 v[146:147], v[62:63], s[22:23], -v[68:69]
	v_mul_f64 v[66:67], v[66:67], s[30:31]
	v_fma_f64 v[150:151], s[20:21], v[144:145], v[148:149]
	v_add_f64 v[166:167], v[0:1], v[146:147]
	v_fma_f64 v[146:147], s[22:23], v[144:145], v[66:67]
	v_add_f64 v[172:173], v[98:99], -v[134:135]
	v_add_f64 v[46:47], v[46:47], v[70:71]
	v_fma_f64 v[70:71], s[2:3], v[62:63], v[56:57]
	v_add_f64 v[160:161], v[2:3], v[150:151]
	v_add_f64 v[168:169], v[2:3], v[146:147]
	;; [unrolled: 1-line block ×3, first 2 shown]
	v_add_f64 v[170:171], v[96:97], -v[132:133]
	v_mul_f64 v[146:147], v[172:173], s[28:29]
	v_add_f64 v[40:41], v[40:41], v[72:73]
	v_add_f64 v[70:71], v[0:1], v[70:71]
	v_fma_f64 v[72:73], v[144:145], s[2:3], -v[58:59]
	v_add_f64 v[152:153], v[98:99], v[134:135]
	v_mul_f64 v[148:149], v[170:171], s[28:29]
	v_fma_f64 v[174:175], s[12:13], v[150:151], v[146:147]
	v_add_f64 v[72:73], v[2:3], v[72:73]
	v_add_f64 v[174:175], v[174:175], v[70:71]
	v_fma_f64 v[70:71], v[152:153], s[12:13], -v[148:149]
	v_add_f64 v[50:51], v[50:51], v[76:77]
	v_fma_f64 v[76:77], v[62:63], s[12:13], -v[74:75]
	v_add_f64 v[176:177], v[70:71], v[72:73]
	v_mul_f64 v[70:71], v[172:173], s[24:25]
	v_add_f64 v[76:77], v[0:1], v[76:77]
	v_fmac_f64_e32 v[74:75], s[12:13], v[62:63]
	v_fma_f64 v[72:73], v[150:151], s[18:19], -v[70:71]
	v_add_f64 v[54:55], v[54:55], v[80:81]
	v_fma_f64 v[80:81], s[12:13], v[144:145], v[78:79]
	v_add_f64 v[74:75], v[0:1], v[74:75]
	v_fma_f64 v[78:79], v[144:145], s[12:13], -v[78:79]
	v_add_f64 v[76:77], v[72:73], v[76:77]
	v_mul_f64 v[72:73], v[170:171], s[24:25]
	v_fmac_f64_e32 v[70:71], s[18:19], v[150:151]
	v_add_f64 v[78:79], v[2:3], v[78:79]
	v_add_f64 v[74:75], v[70:71], v[74:75]
	v_fma_f64 v[70:71], v[152:153], s[18:19], -v[72:73]
	v_fma_f64 v[84:85], v[62:63], s[14:15], -v[82:83]
	v_add_f64 v[78:79], v[70:71], v[78:79]
	v_mul_f64 v[70:71], v[172:173], s[30:31]
	v_add_f64 v[84:85], v[0:1], v[84:85]
	v_fmac_f64_e32 v[82:83], s[14:15], v[62:63]
	v_fma_f64 v[178:179], s[18:19], v[152:153], v[72:73]
	v_fma_f64 v[72:73], v[150:151], s[22:23], -v[70:71]
	v_fma_f64 v[90:91], s[14:15], v[144:145], v[86:87]
	v_add_f64 v[82:83], v[0:1], v[82:83]
	v_fma_f64 v[86:87], v[144:145], s[14:15], -v[86:87]
	v_add_f64 v[84:85], v[72:73], v[84:85]
	v_mul_f64 v[72:73], v[170:171], s[30:31]
	v_fmac_f64_e32 v[70:71], s[22:23], v[150:151]
	v_add_f64 v[86:87], v[2:3], v[86:87]
	v_add_f64 v[82:83], v[70:71], v[82:83]
	v_fma_f64 v[70:71], v[152:153], s[22:23], -v[72:73]
	v_add_f64 v[80:81], v[2:3], v[80:81]
	v_fma_f64 v[94:95], v[62:63], s[18:19], -v[92:93]
	v_add_f64 v[86:87], v[70:71], v[86:87]
	v_mul_f64 v[70:71], v[172:173], s[40:41]
	v_add_f64 v[94:95], v[0:1], v[94:95]
	v_fmac_f64_e32 v[92:93], s[18:19], v[62:63]
	v_add_f64 v[80:81], v[178:179], v[80:81]
	v_fma_f64 v[178:179], s[22:23], v[152:153], v[72:73]
	v_fma_f64 v[72:73], v[150:151], s[20:21], -v[70:71]
	v_add_f64 v[92:93], v[0:1], v[92:93]
	v_add_f64 v[94:95], v[72:73], v[94:95]
	v_mul_f64 v[72:73], v[170:171], s[40:41]
	v_fmac_f64_e32 v[70:71], s[20:21], v[150:151]
	v_add_f64 v[92:93], v[70:71], v[92:93]
	v_fma_f64 v[70:71], v[152:153], s[20:21], -v[72:73]
	v_add_f64 v[90:91], v[2:3], v[90:91]
	v_add_f64 v[156:157], v[70:71], v[156:157]
	v_mul_f64 v[70:71], v[172:173], s[34:35]
	v_add_f64 v[90:91], v[178:179], v[90:91]
	v_fma_f64 v[178:179], s[20:21], v[152:153], v[72:73]
	v_fma_f64 v[72:73], v[150:151], s[14:15], -v[70:71]
	v_add_f64 v[158:159], v[72:73], v[158:159]
	v_mul_f64 v[72:73], v[170:171], s[34:35]
	v_fmac_f64_e32 v[70:71], s[14:15], v[150:151]
	v_add_f64 v[162:163], v[70:71], v[162:163]
	v_fma_f64 v[70:71], v[152:153], s[14:15], -v[72:73]
	v_add_f64 v[164:165], v[70:71], v[164:165]
	v_mul_f64 v[70:71], v[172:173], s[38:39]
	v_add_f64 v[154:155], v[178:179], v[154:155]
	v_fma_f64 v[178:179], s[14:15], v[152:153], v[72:73]
	v_fma_f64 v[72:73], v[150:151], s[2:3], -v[70:71]
	v_fmac_f64_e32 v[68:69], s[22:23], v[62:63]
	v_add_f64 v[166:167], v[72:73], v[166:167]
	v_mul_f64 v[72:73], v[170:171], s[38:39]
	v_add_f64 v[68:69], v[0:1], v[68:69]
	v_fma_f64 v[66:67], v[144:145], s[22:23], -v[66:67]
	v_fma_f64 v[170:171], s[2:3], v[152:153], v[72:73]
	v_fmac_f64_e32 v[70:71], s[2:3], v[150:151]
	v_add_f64 v[66:67], v[2:3], v[66:67]
	v_add_f64 v[168:169], v[170:171], v[168:169]
	;; [unrolled: 1-line block ×3, first 2 shown]
	v_fma_f64 v[68:69], v[152:153], s[2:3], -v[72:73]
	v_add_f64 v[180:181], v[102:103], -v[130:131]
	v_add_f64 v[160:161], v[178:179], v[160:161]
	v_add_f64 v[172:173], v[68:69], v[66:67]
	;; [unrolled: 1-line block ×3, first 2 shown]
	v_add_f64 v[178:179], v[100:101], -v[128:129]
	v_mul_f64 v[66:67], v[180:181], s[36:37]
	v_add_f64 v[72:73], v[102:103], v[130:131]
	v_mul_f64 v[68:69], v[178:179], s[36:37]
	v_fma_f64 v[182:183], s[14:15], v[70:71], v[66:67]
	v_add_f64 v[174:175], v[182:183], v[174:175]
	v_fma_f64 v[182:183], v[72:73], s[14:15], -v[68:69]
	v_add_f64 v[176:177], v[182:183], v[176:177]
	v_mul_f64 v[182:183], v[180:181], s[30:31]
	v_fma_f64 v[184:185], v[70:71], s[22:23], -v[182:183]
	v_add_f64 v[184:185], v[184:185], v[76:77]
	v_mul_f64 v[76:77], v[178:179], s[30:31]
	v_fmac_f64_e32 v[182:183], s[22:23], v[70:71]
	v_add_f64 v[182:183], v[182:183], v[74:75]
	v_fma_f64 v[74:75], v[72:73], s[22:23], -v[76:77]
	v_add_f64 v[188:189], v[74:75], v[78:79]
	v_mul_f64 v[74:75], v[180:181], s[48:49]
	v_fma_f64 v[186:187], s[22:23], v[72:73], v[76:77]
	v_fma_f64 v[76:77], v[70:71], s[18:19], -v[74:75]
	v_add_f64 v[84:85], v[76:77], v[84:85]
	v_mul_f64 v[76:77], v[178:179], s[48:49]
	v_fmac_f64_e32 v[74:75], s[18:19], v[70:71]
	v_add_f64 v[82:83], v[74:75], v[82:83]
	v_fma_f64 v[74:75], v[72:73], s[18:19], -v[76:77]
	v_add_f64 v[86:87], v[74:75], v[86:87]
	v_mul_f64 v[74:75], v[180:181], s[38:39]
	v_fma_f64 v[78:79], s[18:19], v[72:73], v[76:77]
	v_fma_f64 v[76:77], v[70:71], s[2:3], -v[74:75]
	v_add_f64 v[94:95], v[76:77], v[94:95]
	v_mul_f64 v[76:77], v[178:179], s[38:39]
	v_fmac_f64_e32 v[74:75], s[2:3], v[70:71]
	v_add_f64 v[92:93], v[74:75], v[92:93]
	v_fma_f64 v[74:75], v[72:73], s[2:3], -v[76:77]
	v_add_f64 v[156:157], v[74:75], v[156:157]
	v_mul_f64 v[74:75], v[180:181], s[28:29]
	v_add_f64 v[90:91], v[78:79], v[90:91]
	v_fma_f64 v[78:79], s[2:3], v[72:73], v[76:77]
	v_fma_f64 v[76:77], v[70:71], s[12:13], -v[74:75]
	v_add_f64 v[158:159], v[76:77], v[158:159]
	v_mul_f64 v[76:77], v[178:179], s[28:29]
	v_fmac_f64_e32 v[74:75], s[12:13], v[70:71]
	v_add_f64 v[162:163], v[74:75], v[162:163]
	v_fma_f64 v[74:75], v[72:73], s[12:13], -v[76:77]
	v_add_f64 v[164:165], v[74:75], v[164:165]
	v_mul_f64 v[74:75], v[180:181], s[26:27]
	v_add_f64 v[154:155], v[78:79], v[154:155]
	v_fma_f64 v[78:79], s[12:13], v[72:73], v[76:77]
	v_fma_f64 v[76:77], v[70:71], s[20:21], -v[74:75]
	v_add_f64 v[166:167], v[76:77], v[166:167]
	v_mul_f64 v[76:77], v[178:179], s[26:27]
	v_fmac_f64_e32 v[74:75], s[20:21], v[70:71]
	v_add_f64 v[160:161], v[78:79], v[160:161]
	v_fma_f64 v[78:79], s[20:21], v[72:73], v[76:77]
	v_add_f64 v[170:171], v[74:75], v[170:171]
	v_fma_f64 v[74:75], v[72:73], s[20:21], -v[76:77]
	v_add_f64 v[180:181], v[106:107], -v[126:127]
	v_add_f64 v[168:169], v[78:79], v[168:169]
	v_add_f64 v[172:173], v[74:75], v[172:173]
	;; [unrolled: 1-line block ×3, first 2 shown]
	v_add_f64 v[178:179], v[104:105], -v[124:125]
	v_mul_f64 v[74:75], v[180:181], s[24:25]
	v_add_f64 v[186:187], v[186:187], v[80:81]
	v_add_f64 v[80:81], v[106:107], v[126:127]
	v_mul_f64 v[76:77], v[178:179], s[24:25]
	v_fma_f64 v[190:191], s[18:19], v[78:79], v[74:75]
	v_add_f64 v[174:175], v[190:191], v[174:175]
	v_fma_f64 v[190:191], v[80:81], s[18:19], -v[76:77]
	v_add_f64 v[176:177], v[190:191], v[176:177]
	v_mul_f64 v[190:191], v[180:181], s[40:41]
	v_fma_f64 v[192:193], v[78:79], s[20:21], -v[190:191]
	v_add_f64 v[184:185], v[192:193], v[184:185]
	v_mul_f64 v[192:193], v[178:179], s[40:41]
	v_fmac_f64_e32 v[190:191], s[20:21], v[78:79]
	v_add_f64 v[182:183], v[190:191], v[182:183]
	v_fma_f64 v[190:191], v[80:81], s[20:21], -v[192:193]
	v_add_f64 v[188:189], v[190:191], v[188:189]
	v_mul_f64 v[190:191], v[180:181], s[38:39]
	v_fma_f64 v[194:195], s[20:21], v[80:81], v[192:193]
	v_fma_f64 v[192:193], v[78:79], s[2:3], -v[190:191]
	v_add_f64 v[192:193], v[192:193], v[84:85]
	v_mul_f64 v[84:85], v[178:179], s[38:39]
	v_fmac_f64_e32 v[190:191], s[2:3], v[78:79]
	v_add_f64 v[186:187], v[194:195], v[186:187]
	v_fma_f64 v[194:195], s[2:3], v[80:81], v[84:85]
	v_add_f64 v[190:191], v[190:191], v[82:83]
	v_fma_f64 v[82:83], v[80:81], s[2:3], -v[84:85]
	v_add_f64 v[90:91], v[194:195], v[90:91]
	v_add_f64 v[194:195], v[82:83], v[86:87]
	v_mul_f64 v[82:83], v[180:181], s[36:37]
	v_fma_f64 v[84:85], v[78:79], s[14:15], -v[82:83]
	v_add_f64 v[94:95], v[84:85], v[94:95]
	v_mul_f64 v[84:85], v[178:179], s[36:37]
	v_fmac_f64_e32 v[82:83], s[14:15], v[78:79]
	v_add_f64 v[92:93], v[82:83], v[92:93]
	v_fma_f64 v[82:83], v[80:81], s[14:15], -v[84:85]
	v_add_f64 v[156:157], v[82:83], v[156:157]
	v_mul_f64 v[82:83], v[180:181], s[46:47]
	v_fma_f64 v[86:87], s[14:15], v[80:81], v[84:85]
	v_fma_f64 v[84:85], v[78:79], s[22:23], -v[82:83]
	v_add_f64 v[158:159], v[84:85], v[158:159]
	v_mul_f64 v[84:85], v[178:179], s[46:47]
	v_fmac_f64_e32 v[82:83], s[22:23], v[78:79]
	v_add_f64 v[162:163], v[82:83], v[162:163]
	v_fma_f64 v[82:83], v[80:81], s[22:23], -v[84:85]
	v_add_f64 v[164:165], v[82:83], v[164:165]
	v_mul_f64 v[82:83], v[180:181], s[42:43]
	v_add_f64 v[196:197], v[86:87], v[154:155]
	v_fma_f64 v[86:87], s[22:23], v[80:81], v[84:85]
	v_fma_f64 v[84:85], v[78:79], s[12:13], -v[82:83]
	v_add_f64 v[166:167], v[84:85], v[166:167]
	v_mul_f64 v[84:85], v[178:179], s[42:43]
	v_fmac_f64_e32 v[82:83], s[12:13], v[78:79]
	v_add_f64 v[160:161], v[86:87], v[160:161]
	v_fma_f64 v[86:87], s[12:13], v[80:81], v[84:85]
	v_add_f64 v[170:171], v[82:83], v[170:171]
	v_fma_f64 v[82:83], v[80:81], s[12:13], -v[84:85]
	v_add_f64 v[180:181], v[110:111], -v[122:123]
	v_add_f64 v[168:169], v[86:87], v[168:169]
	v_add_f64 v[172:173], v[82:83], v[172:173]
	;; [unrolled: 1-line block ×3, first 2 shown]
	v_add_f64 v[178:179], v[108:109], -v[120:121]
	v_mul_f64 v[82:83], v[180:181], s[26:27]
	v_add_f64 v[154:155], v[110:111], v[122:123]
	v_mul_f64 v[84:85], v[178:179], s[26:27]
	v_fma_f64 v[198:199], s[20:21], v[86:87], v[82:83]
	v_add_f64 v[174:175], v[198:199], v[174:175]
	v_fma_f64 v[198:199], v[154:155], s[20:21], -v[84:85]
	v_add_f64 v[176:177], v[198:199], v[176:177]
	v_mul_f64 v[198:199], v[180:181], s[34:35]
	v_fma_f64 v[200:201], v[86:87], s[14:15], -v[198:199]
	v_add_f64 v[184:185], v[200:201], v[184:185]
	v_mul_f64 v[200:201], v[178:179], s[34:35]
	v_fmac_f64_e32 v[198:199], s[14:15], v[86:87]
	v_add_f64 v[182:183], v[198:199], v[182:183]
	v_fma_f64 v[198:199], v[154:155], s[14:15], -v[200:201]
	v_add_f64 v[188:189], v[198:199], v[188:189]
	v_mul_f64 v[198:199], v[180:181], s[28:29]
	v_fma_f64 v[202:203], s[14:15], v[154:155], v[200:201]
	v_fma_f64 v[200:201], v[86:87], s[12:13], -v[198:199]
	v_add_f64 v[192:193], v[200:201], v[192:193]
	v_mul_f64 v[200:201], v[178:179], s[28:29]
	v_fmac_f64_e32 v[198:199], s[12:13], v[86:87]
	v_add_f64 v[190:191], v[198:199], v[190:191]
	v_fma_f64 v[198:199], v[154:155], s[12:13], -v[200:201]
	v_add_f64 v[194:195], v[198:199], v[194:195]
	v_mul_f64 v[198:199], v[180:181], s[46:47]
	v_add_f64 v[186:187], v[202:203], v[186:187]
	v_fma_f64 v[202:203], s[12:13], v[154:155], v[200:201]
	v_fma_f64 v[200:201], v[86:87], s[22:23], -v[198:199]
	v_add_f64 v[94:95], v[200:201], v[94:95]
	v_mul_f64 v[200:201], v[178:179], s[46:47]
	v_fmac_f64_e32 v[198:199], s[22:23], v[86:87]
	v_add_f64 v[92:93], v[198:199], v[92:93]
	v_fma_f64 v[198:199], v[154:155], s[22:23], -v[200:201]
	v_add_f64 v[198:199], v[198:199], v[156:157]
	v_mul_f64 v[156:157], v[180:181], s[38:39]
	v_add_f64 v[90:91], v[202:203], v[90:91]
	;; [unrolled: 10-line block ×3, first 2 shown]
	v_fma_f64 v[202:203], s[2:3], v[154:155], v[158:159]
	v_fma_f64 v[158:159], v[86:87], s[18:19], -v[156:157]
	v_add_f64 v[166:167], v[158:159], v[166:167]
	v_mul_f64 v[158:159], v[178:179], s[24:25]
	v_fmac_f64_e32 v[156:157], s[18:19], v[86:87]
	v_add_f64 v[170:171], v[156:157], v[170:171]
	v_fma_f64 v[156:157], v[154:155], s[18:19], -v[158:159]
	v_add_f64 v[180:181], v[114:115], -v[118:119]
	v_add_f64 v[202:203], v[202:203], v[160:161]
	v_fma_f64 v[160:161], s[18:19], v[154:155], v[158:159]
	v_add_f64 v[172:173], v[156:157], v[172:173]
	v_add_f64 v[158:159], v[112:113], v[116:117]
	v_add_f64 v[178:179], v[112:113], -v[116:117]
	v_mul_f64 v[156:157], v[180:181], s[30:31]
	v_add_f64 v[168:169], v[160:161], v[168:169]
	v_add_f64 v[160:161], v[114:115], v[118:119]
	v_mul_f64 v[162:163], v[178:179], s[30:31]
	v_fma_f64 v[206:207], s[22:23], v[158:159], v[156:157]
	v_add_f64 v[206:207], v[206:207], v[174:175]
	v_fma_f64 v[174:175], v[160:161], s[22:23], -v[162:163]
	v_add_f64 v[208:209], v[174:175], v[176:177]
	v_mul_f64 v[174:175], v[180:181], s[38:39]
	v_accvgpr_write_b32 a74, v206
	v_fma_f64 v[176:177], v[158:159], s[2:3], -v[174:175]
	v_accvgpr_write_b32 a75, v207
	v_accvgpr_write_b32 a76, v208
	;; [unrolled: 1-line block ×3, first 2 shown]
	v_add_f64 v[206:207], v[176:177], v[184:185]
	v_mul_f64 v[176:177], v[178:179], s[38:39]
	v_fmac_f64_e32 v[174:175], s[2:3], v[158:159]
	v_fma_f64 v[184:185], s[2:3], v[160:161], v[176:177]
	v_add_f64 v[182:183], v[174:175], v[182:183]
	v_fma_f64 v[174:175], v[160:161], s[2:3], -v[176:177]
	v_add_f64 v[208:209], v[184:185], v[186:187]
	v_add_f64 v[184:185], v[174:175], v[188:189]
	v_mul_f64 v[174:175], v[180:181], s[26:27]
	v_accvgpr_write_b32 a78, v182
	v_fma_f64 v[176:177], v[158:159], s[20:21], -v[174:175]
	v_accvgpr_write_b32 a79, v183
	v_accvgpr_write_b32 a80, v184
	;; [unrolled: 1-line block ×3, first 2 shown]
	v_add_f64 v[184:185], v[176:177], v[192:193]
	v_mul_f64 v[176:177], v[178:179], s[26:27]
	v_fma_f64 v[182:183], s[20:21], v[160:161], v[176:177]
	v_fmac_f64_e32 v[174:175], s[20:21], v[158:159]
	v_add_f64 v[186:187], v[182:183], v[90:91]
	v_add_f64 v[174:175], v[174:175], v[190:191]
	v_fma_f64 v[90:91], v[160:161], s[20:21], -v[176:177]
	v_add_f64 v[176:177], v[90:91], v[194:195]
	v_accvgpr_write_b32 a82, v174
	v_mul_f64 v[90:91], v[180:181], s[42:43]
	v_accvgpr_write_b32 a83, v175
	v_accvgpr_write_b32 a84, v176
	;; [unrolled: 1-line block ×3, first 2 shown]
	v_fma_f64 v[174:175], v[158:159], s[12:13], -v[90:91]
	v_add_f64 v[182:183], v[174:175], v[94:95]
	v_mul_f64 v[94:95], v[178:179], s[42:43]
	v_fmac_f64_e32 v[90:91], s[12:13], v[158:159]
	v_add_f64 v[92:93], v[90:91], v[92:93]
	v_fma_f64 v[90:91], v[160:161], s[12:13], -v[94:95]
	v_fma_f64 v[174:175], s[12:13], v[160:161], v[94:95]
	v_add_f64 v[94:95], v[90:91], v[198:199]
	v_accvgpr_write_b32 a86, v92
	v_mul_f64 v[90:91], v[180:181], s[24:25]
	v_accvgpr_write_b32 a58, v184
	v_accvgpr_write_b32 a87, v93
	;; [unrolled: 1-line block ×4, first 2 shown]
	v_fma_f64 v[92:93], v[158:159], s[18:19], -v[90:91]
	v_accvgpr_write_b32 a59, v185
	v_accvgpr_write_b32 a60, v186
	;; [unrolled: 1-line block ×3, first 2 shown]
	v_add_f64 v[184:185], v[174:175], v[196:197]
	v_add_f64 v[174:175], v[92:93], v[200:201]
	v_mul_f64 v[92:93], v[178:179], s[24:25]
	v_fma_f64 v[94:95], s[18:19], v[160:161], v[92:93]
	v_add_f64 v[176:177], v[94:95], v[202:203]
	v_accvgpr_write_b32 a66, v174
	v_fmac_f64_e32 v[90:91], s[18:19], v[158:159]
	v_accvgpr_write_b32 a67, v175
	v_accvgpr_write_b32 a68, v176
	v_accvgpr_write_b32 a69, v177
	v_add_f64 v[174:175], v[90:91], v[204:205]
	v_fma_f64 v[90:91], v[160:161], s[18:19], -v[92:93]
	v_add_f64 v[176:177], v[90:91], v[164:165]
	v_mul_f64 v[90:91], v[180:181], s[34:35]
	v_fma_f64 v[92:93], v[158:159], s[14:15], -v[90:91]
	v_add_f64 v[164:165], v[92:93], v[166:167]
	v_mul_f64 v[92:93], v[178:179], s[34:35]
	v_fma_f64 v[94:95], s[14:15], v[160:161], v[92:93]
	v_add_f64 v[166:167], v[94:95], v[168:169]
	v_accvgpr_write_b32 a70, v164
	v_fmac_f64_e32 v[90:91], s[14:15], v[158:159]
	v_accvgpr_write_b32 a71, v165
	v_accvgpr_write_b32 a72, v166
	;; [unrolled: 1-line block ×3, first 2 shown]
	v_add_f64 v[164:165], v[90:91], v[170:171]
	v_fma_f64 v[90:91], v[160:161], s[14:15], -v[92:93]
	v_mul_lo_u16_e32 v61, 13, v89
	v_accvgpr_write_b32 a54, v206
	v_accvgpr_write_b32 a62, v182
	;; [unrolled: 1-line block ×3, first 2 shown]
	v_add_f64 v[166:167], v[90:91], v[172:173]
	v_lshlrev_b32_e32 v91, 4, v61
	v_accvgpr_write_b32 a55, v207
	v_accvgpr_write_b32 a56, v208
	;; [unrolled: 1-line block ×9, first 2 shown]
	s_barrier
	ds_write_b128 v91, v[140:143]
	ds_write_b128 v91, v[16:19] offset:16
	ds_write_b128 v91, v[24:27] offset:32
	;; [unrolled: 1-line block ×12, first 2 shown]
	v_mul_u32_u24_e32 v140, 13, v60
	s_and_saveexec_b64 s[24:25], vcc
	s_cbranch_execz .LBB0_7
; %bb.6:
	v_mul_f64 v[8:9], v[62:63], s[2:3]
	v_mul_f64 v[10:11], v[144:145], s[2:3]
	v_add_f64 v[10:11], v[58:59], v[10:11]
	v_add_f64 v[8:9], v[8:9], -v[56:57]
	v_add_f64 v[10:11], v[2:3], v[10:11]
	v_add_f64 v[8:9], v[0:1], v[8:9]
	v_add_f64 v[2:3], v[2:3], v[6:7]
	v_add_f64 v[0:1], v[0:1], v[4:5]
	v_add_f64 v[2:3], v[2:3], v[98:99]
	v_add_f64 v[0:1], v[0:1], v[96:97]
	v_add_f64 v[2:3], v[2:3], v[102:103]
	v_add_f64 v[0:1], v[0:1], v[100:101]
	v_add_f64 v[2:3], v[2:3], v[106:107]
	v_add_f64 v[0:1], v[0:1], v[104:105]
	v_add_f64 v[2:3], v[2:3], v[110:111]
	v_add_f64 v[0:1], v[0:1], v[108:109]
	v_add_f64 v[2:3], v[2:3], v[114:115]
	v_add_f64 v[0:1], v[0:1], v[112:113]
	v_mul_f64 v[12:13], v[150:151], s[12:13]
	v_mul_f64 v[14:15], v[152:153], s[12:13]
	v_add_f64 v[2:3], v[2:3], v[118:119]
	v_add_f64 v[0:1], v[0:1], v[116:117]
	v_mul_f64 v[16:17], v[70:71], s[14:15]
	v_mul_f64 v[18:19], v[72:73], s[14:15]
	v_add_f64 v[14:15], v[148:149], v[14:15]
	v_add_f64 v[12:13], v[12:13], -v[146:147]
	v_add_f64 v[2:3], v[2:3], v[122:123]
	v_add_f64 v[0:1], v[0:1], v[120:121]
	v_mul_f64 v[20:21], v[78:79], s[18:19]
	v_mul_f64 v[22:23], v[80:81], s[18:19]
	v_add_f64 v[18:19], v[68:69], v[18:19]
	v_add_f64 v[10:11], v[14:15], v[10:11]
	v_add_f64 v[16:17], v[16:17], -v[66:67]
	v_add_f64 v[8:9], v[12:13], v[8:9]
	v_add_f64 v[2:3], v[2:3], v[126:127]
	v_add_f64 v[0:1], v[0:1], v[124:125]
	v_mul_f64 v[24:25], v[86:87], s[20:21]
	v_mul_f64 v[26:27], v[154:155], s[20:21]
	v_add_f64 v[22:23], v[76:77], v[22:23]
	v_add_f64 v[10:11], v[18:19], v[10:11]
	v_add_f64 v[20:21], v[20:21], -v[74:75]
	v_add_f64 v[8:9], v[16:17], v[8:9]
	;; [unrolled: 8-line block ×3, first 2 shown]
	v_add_f64 v[2:3], v[2:3], v[134:135]
	v_add_f64 v[0:1], v[0:1], v[132:133]
	;; [unrolled: 1-line block ×4, first 2 shown]
	v_add_f64 v[14:15], v[28:29], -v[156:157]
	v_add_f64 v[8:9], v[18:19], v[8:9]
	v_add_f64 v[2:3], v[2:3], v[138:139]
	v_add_f64 v[0:1], v[0:1], v[136:137]
	v_lshlrev_b32_e32 v4, 4, v140
	v_add_f64 v[10:11], v[30:31], v[10:11]
	v_add_f64 v[8:9], v[14:15], v[8:9]
	ds_write_b128 v4, v[0:3]
	ds_write_b128 v4, v[8:11] offset:16
	ds_write_b128 v4, a[54:57] offset:32
	ds_write_b128 v4, a[58:61] offset:48
	ds_write_b128 v4, a[62:65] offset:64
	ds_write_b128 v4, a[66:69] offset:80
	ds_write_b128 v4, a[70:73] offset:96
	ds_write_b128 v4, v[164:167] offset:112
	ds_write_b128 v4, a[90:93] offset:128
	ds_write_b128 v4, a[86:89] offset:144
	ds_write_b128 v4, a[82:85] offset:160
	ds_write_b128 v4, a[78:81] offset:176
	ds_write_b128 v4, a[74:77] offset:192
.LBB0_7:
	s_or_b64 exec, exec, s[24:25]
	s_movk_i32 s3, 0x4f
	v_mul_lo_u16_sdwa v0, v89, s3 dst_sel:DWORD dst_unused:UNUSED_PAD src0_sel:BYTE_0 src1_sel:DWORD
	v_lshrrev_b16_e32 v19, 10, v0
	v_mul_lo_u16_e32 v0, 13, v19
	v_sub_u16_e32 v0, v89, v0
	v_and_b32_e32 v61, 0xff, v0
	v_lshlrev_b32_e32 v0, 5, v61
	s_waitcnt lgkmcnt(0)
	s_barrier
	global_load_dwordx4 v[114:117], v0, s[4:5] offset:16
	global_load_dwordx4 v[122:125], v0, s[4:5]
	v_mul_lo_u16_sdwa v0, v60, s3 dst_sel:DWORD dst_unused:UNUSED_PAD src0_sel:BYTE_0 src1_sel:DWORD
	v_lshrrev_b16_e32 v90, 10, v0
	v_mul_lo_u16_e32 v0, 13, v90
	v_sub_u16_e32 v0, v60, v0
	s_movk_i32 s2, 0xea
	v_and_b32_e32 v104, 0xff, v0
	v_add_u32_e32 v17, 0x15f, v89
	v_lshlrev_b32_e32 v0, 5, v104
	s_movk_i32 s12, 0x4ec5
	v_add_co_u32_e64 v16, s[2:3], s2, v89
	global_load_dwordx4 v[126:129], v0, s[4:5] offset:16
	global_load_dwordx4 v[130:133], v0, s[4:5]
	v_mul_u32_u24_sdwa v0, v17, s12 dst_sel:DWORD dst_unused:UNUSED_PAD src0_sel:WORD_0 src1_sel:DWORD
	v_mul_u32_u24_sdwa v1, v16, s12 dst_sel:DWORD dst_unused:UNUSED_PAD src0_sel:WORD_0 src1_sel:DWORD
	v_lshrrev_b32_e32 v105, 18, v0
	v_lshrrev_b32_e32 v107, 18, v1
	v_mul_lo_u16_e32 v0, 13, v105
	v_mul_lo_u16_e32 v1, 13, v107
	v_sub_u16_e32 v106, v17, v0
	v_sub_u16_e32 v108, v16, v1
	v_lshlrev_b16_e32 v0, 1, v106
	v_lshlrev_b16_e32 v1, 1, v108
	v_lshlrev_b32_e32 v0, 4, v0
	v_lshlrev_b32_e32 v1, 4, v1
	v_add_u32_e32 v18, 0x1d4, v89
	global_load_dwordx4 v[134:137], v0, s[4:5]
	global_load_dwordx4 v[154:157], v1, s[4:5]
	global_load_dwordx4 v[150:153], v1, s[4:5] offset:16
	global_load_dwordx4 v[142:145], v0, s[4:5] offset:16
	v_mul_u32_u24_sdwa v0, v18, s12 dst_sel:DWORD dst_unused:UNUSED_PAD src0_sel:WORD_0 src1_sel:DWORD
	v_lshrrev_b32_e32 v109, 18, v0
	v_mul_lo_u16_e32 v0, 13, v109
	v_sub_u16_e32 v110, v18, v0
	v_lshlrev_b16_e32 v0, 1, v110
	v_lshlrev_b32_e32 v0, 4, v0
	global_load_dwordx4 v[118:121], v0, s[4:5]
	global_load_dwordx4 v[168:171], v0, s[4:5] offset:16
	ds_read_b128 v[20:23], v88
	ds_read_b128 v[12:15], v88 offset:1872
	ds_read_b128 v[24:27], v88 offset:18720
	;; [unrolled: 1-line block ×14, first 2 shown]
	s_mov_b32 s12, 0xe8584caa
	s_mov_b32 s13, 0x3febb67a
	;; [unrolled: 1-line block ×4, first 2 shown]
	v_mul_u32_u24_e32 v19, 39, v19
	v_add_lshl_u32 v175, v19, v61, 4
	v_mul_u32_u24_e32 v19, 39, v90
	s_waitcnt lgkmcnt(0)
	s_barrier
	s_movk_i32 s2, 0xa5
	s_mov_b32 s18, 0xa41b
	s_mov_b32 s19, 0xbfe2cf23
	s_waitcnt vmcnt(9)
	v_mul_f64 v[72:73], v[26:27], v[116:117]
	s_waitcnt vmcnt(8)
	v_mul_f64 v[70:71], v[48:49], v[124:125]
	v_mul_f64 v[62:63], v[50:51], v[124:125]
	;; [unrolled: 1-line block ×3, first 2 shown]
	v_fmac_f64_e32 v[70:71], v[50:51], v[122:123]
	v_fma_f64 v[50:51], v[24:25], v[114:115], -v[72:73]
	v_fma_f64 v[48:49], v[48:49], v[122:123], -v[62:63]
	v_fmac_f64_e32 v[74:75], v[26:27], v[114:115]
	s_waitcnt vmcnt(7)
	v_mul_f64 v[80:81], v[30:31], v[128:129]
	s_waitcnt vmcnt(6)
	v_mul_f64 v[76:77], v[34:35], v[132:133]
	v_mul_f64 v[82:83], v[28:29], v[128:129]
	;; [unrolled: 1-line block ×3, first 2 shown]
	v_fma_f64 v[62:63], v[32:33], v[130:131], -v[76:77]
	v_fma_f64 v[72:73], v[28:29], v[126:127], -v[80:81]
	v_fmac_f64_e32 v[82:83], v[30:31], v[126:127]
	v_add_f64 v[30:31], v[70:71], v[74:75]
	v_fmac_f64_e32 v[78:79], v[34:35], v[130:131]
	v_add_f64 v[32:33], v[48:49], -v[50:51]
	v_add_f64 v[34:35], v[62:63], v[72:73]
	s_waitcnt vmcnt(4)
	v_mul_f64 v[24:25], v[38:39], v[156:157]
	v_fma_f64 v[86:87], v[36:37], v[154:155], -v[24:25]
	v_mul_f64 v[94:95], v[52:53], v[136:137]
	s_waitcnt vmcnt(2)
	v_mul_f64 v[24:25], v[46:47], v[144:145]
	v_mul_f64 v[84:85], v[54:55], v[136:137]
	;; [unrolled: 1-line block ×3, first 2 shown]
	v_fmac_f64_e32 v[94:95], v[54:55], v[134:135]
	v_fma_f64 v[54:55], v[44:45], v[142:143], -v[24:25]
	s_waitcnt vmcnt(1)
	v_mul_f64 v[24:25], v[58:59], v[120:121]
	v_fma_f64 v[92:93], v[40:41], v[150:151], -v[26:27]
	v_fma_f64 v[98:99], v[56:57], v[118:119], -v[24:25]
	s_waitcnt vmcnt(0)
	v_mul_f64 v[24:25], v[68:69], v[170:171]
	v_add_f64 v[26:27], v[48:49], v[50:51]
	v_fma_f64 v[102:103], v[66:67], v[168:169], -v[24:25]
	v_add_f64 v[24:25], v[20:21], v[48:49]
	v_fmac_f64_e32 v[20:21], -0.5, v[26:27]
	v_add_f64 v[26:27], v[70:71], -v[74:75]
	v_mul_f64 v[76:77], v[36:37], v[156:157]
	v_fma_f64 v[28:29], s[12:13], v[26:27], v[20:21]
	v_fmac_f64_e32 v[20:21], s[14:15], v[26:27]
	v_add_f64 v[26:27], v[22:23], v[70:71]
	v_fmac_f64_e32 v[22:23], -0.5, v[30:31]
	v_mul_f64 v[80:81], v[40:41], v[152:153]
	v_fmac_f64_e32 v[76:77], v[38:39], v[154:155]
	v_fma_f64 v[30:31], s[14:15], v[32:33], v[22:23]
	v_fmac_f64_e32 v[22:23], s[12:13], v[32:33]
	v_add_f64 v[32:33], v[12:13], v[62:63]
	v_fmac_f64_e32 v[12:13], -0.5, v[34:35]
	v_add_f64 v[34:35], v[78:79], -v[82:83]
	v_add_f64 v[38:39], v[78:79], v[82:83]
	v_fmac_f64_e32 v[80:81], v[42:43], v[150:151]
	v_mul_f64 v[96:97], v[44:45], v[144:145]
	v_fma_f64 v[36:37], s[12:13], v[34:35], v[12:13]
	v_fmac_f64_e32 v[12:13], s[14:15], v[34:35]
	v_add_f64 v[34:35], v[14:15], v[78:79]
	v_fmac_f64_e32 v[14:15], -0.5, v[38:39]
	v_add_f64 v[40:41], v[62:63], -v[72:73]
	v_add_f64 v[42:43], v[86:87], v[92:93]
	v_fma_f64 v[84:85], v[52:53], v[134:135], -v[84:85]
	v_fmac_f64_e32 v[96:97], v[46:47], v[142:143]
	v_fma_f64 v[38:39], s[14:15], v[40:41], v[14:15]
	v_fmac_f64_e32 v[14:15], s[12:13], v[40:41]
	v_add_f64 v[40:41], v[8:9], v[86:87]
	v_fmac_f64_e32 v[8:9], -0.5, v[42:43]
	v_add_f64 v[42:43], v[76:77], -v[80:81]
	v_add_f64 v[46:47], v[76:77], v[80:81]
	v_mul_f64 v[100:101], v[56:57], v[120:121]
	v_accvgpr_write_b32 a106, v118
	v_add_f64 v[24:25], v[24:25], v[50:51]
	v_fma_f64 v[44:45], s[12:13], v[42:43], v[8:9]
	v_fmac_f64_e32 v[8:9], s[14:15], v[42:43]
	v_add_f64 v[42:43], v[10:11], v[76:77]
	v_fmac_f64_e32 v[10:11], -0.5, v[46:47]
	v_add_f64 v[48:49], v[86:87], -v[92:93]
	v_add_f64 v[50:51], v[84:85], v[54:55]
	v_accvgpr_write_b32 a107, v119
	v_accvgpr_write_b32 a108, v120
	v_accvgpr_write_b32 a109, v121
	v_fmac_f64_e32 v[100:101], v[58:59], v[118:119]
	v_mul_f64 v[120:121], v[66:67], v[170:171]
	v_add_f64 v[26:27], v[26:27], v[74:75]
	v_add_f64 v[32:33], v[32:33], v[72:73]
	;; [unrolled: 1-line block ×3, first 2 shown]
	v_fma_f64 v[46:47], s[14:15], v[48:49], v[10:11]
	v_fmac_f64_e32 v[10:11], s[12:13], v[48:49]
	v_add_f64 v[48:49], v[4:5], v[84:85]
	v_fmac_f64_e32 v[4:5], -0.5, v[50:51]
	v_add_f64 v[50:51], v[94:95], -v[96:97]
	v_add_f64 v[56:57], v[94:95], v[96:97]
	v_add_lshl_u32 v118, v19, v104, 4
	v_fmac_f64_e32 v[120:121], v[68:69], v[168:169]
	v_fma_f64 v[52:53], s[12:13], v[50:51], v[4:5]
	v_fmac_f64_e32 v[4:5], s[14:15], v[50:51]
	v_add_f64 v[50:51], v[6:7], v[94:95]
	v_fmac_f64_e32 v[6:7], -0.5, v[56:57]
	v_add_f64 v[56:57], v[84:85], -v[54:55]
	v_add_f64 v[58:59], v[98:99], v[102:103]
	ds_write_b128 v175, v[24:27]
	ds_write_b128 v175, v[28:31] offset:208
	ds_write_b128 v175, v[20:23] offset:416
	ds_write_b128 v118, v[32:35]
	ds_write_b128 v118, v[36:39] offset:208
	ds_write_b128 v118, v[12:15] offset:416
	v_mad_legacy_u16 v12, v107, 39, v108
	v_add_f64 v[40:41], v[40:41], v[92:93]
	v_add_f64 v[42:43], v[42:43], v[80:81]
	;; [unrolled: 1-line block ×3, first 2 shown]
	v_fma_f64 v[54:55], s[14:15], v[56:57], v[6:7]
	v_fmac_f64_e32 v[6:7], s[12:13], v[56:57]
	v_add_f64 v[56:57], v[0:1], v[98:99]
	v_fmac_f64_e32 v[0:1], -0.5, v[58:59]
	v_add_f64 v[58:59], v[100:101], -v[120:121]
	v_lshlrev_b32_e32 v119, 4, v12
	v_fma_f64 v[66:67], s[12:13], v[58:59], v[0:1]
	v_fmac_f64_e32 v[0:1], s[14:15], v[58:59]
	v_add_f64 v[58:59], v[2:3], v[100:101]
	ds_write_b128 v119, v[40:43]
	ds_write_b128 v119, v[44:47] offset:208
	ds_write_b128 v119, v[8:11] offset:416
	v_mad_legacy_u16 v8, v105, 39, v106
	v_add_f64 v[50:51], v[50:51], v[96:97]
	v_add_f64 v[58:59], v[58:59], v[120:121]
	;; [unrolled: 1-line block ×3, first 2 shown]
	v_lshlrev_b32_e32 v120, 4, v8
	ds_write_b128 v120, v[48:51]
	ds_write_b128 v120, v[52:55] offset:208
	ds_write_b128 v120, v[4:7] offset:416
	v_mad_legacy_u16 v4, v109, 39, v110
	v_add_f64 v[56:57], v[56:57], v[102:103]
	v_fmac_f64_e32 v[2:3], -0.5, v[62:63]
	v_add_f64 v[62:63], v[98:99], -v[102:103]
	v_lshlrev_b32_e32 v121, 4, v4
	v_fma_f64 v[68:69], s[14:15], v[62:63], v[2:3]
	v_fmac_f64_e32 v[2:3], s[12:13], v[62:63]
	ds_write_b128 v121, v[56:59]
	ds_write_b128 v121, v[66:69] offset:208
	ds_write_b128 v121, v[0:3] offset:416
	v_mul_lo_u16_sdwa v0, v89, s2 dst_sel:DWORD dst_unused:UNUSED_PAD src0_sel:BYTE_0 src1_sel:DWORD
	v_sub_u16_sdwa v1, v89, v0 dst_sel:DWORD dst_unused:UNUSED_PAD src0_sel:DWORD src1_sel:BYTE_1
	v_lshrrev_b16_e32 v1, 1, v1
	v_and_b32_e32 v1, 0x7f, v1
	v_add_u16_sdwa v0, v1, v0 dst_sel:DWORD dst_unused:UNUSED_PAD src0_sel:DWORD src1_sel:BYTE_1
	v_lshrrev_b16_e32 v0, 5, v0
	v_and_b32_e32 v13, 7, v0
	v_mul_lo_u16_e32 v0, 39, v13
	v_sub_u16_e32 v0, v89, v0
	v_and_b32_e32 v19, 0xff, v0
	v_lshlrev_b32_e32 v0, 5, v19
	s_waitcnt lgkmcnt(0)
	s_barrier
	global_load_dwordx4 v[146:149], v0, s[4:5] offset:432
	global_load_dwordx4 v[158:161], v0, s[4:5] offset:416
	v_mul_lo_u16_sdwa v0, v60, s2 dst_sel:DWORD dst_unused:UNUSED_PAD src0_sel:BYTE_0 src1_sel:DWORD
	v_sub_u16_sdwa v1, v60, v0 dst_sel:DWORD dst_unused:UNUSED_PAD src0_sel:DWORD src1_sel:BYTE_1
	v_lshrrev_b16_e32 v1, 1, v1
	v_and_b32_e32 v1, 0x7f, v1
	v_add_u16_sdwa v0, v1, v0 dst_sel:DWORD dst_unused:UNUSED_PAD src0_sel:DWORD src1_sel:BYTE_1
	v_lshrrev_b16_e32 v0, 5, v0
	v_and_b32_e32 v61, 7, v0
	v_mul_lo_u16_e32 v0, 39, v61
	v_sub_u16_e32 v0, v60, v0
	v_and_b32_e32 v90, 0xff, v0
	v_lshlrev_b32_e32 v0, 5, v90
	global_load_dwordx4 v[82:85], v0, s[4:5] offset:432
	global_load_dwordx4 v[78:81], v0, s[4:5] offset:416
	v_mul_u32_u24_sdwa v0, v16, s18 dst_sel:DWORD dst_unused:UNUSED_PAD src0_sel:WORD_0 src1_sel:DWORD
	v_sub_u16_sdwa v1, v16, v0 dst_sel:DWORD dst_unused:UNUSED_PAD src0_sel:DWORD src1_sel:WORD_1
	v_lshrrev_b16_e32 v1, 1, v1
	v_add_u16_sdwa v0, v1, v0 dst_sel:DWORD dst_unused:UNUSED_PAD src0_sel:DWORD src1_sel:WORD_1
	v_lshrrev_b16_e32 v104, 5, v0
	v_mul_lo_u16_e32 v0, 39, v104
	v_sub_u16_e32 v105, v16, v0
	v_lshlrev_b16_e32 v0, 5, v105
	v_mov_b32_e32 v12, s5
	v_add_co_u32_e64 v0, s[2:3], s4, v0
	v_addc_co_u32_e64 v1, s[2:3], 0, v12, s[2:3]
	global_load_dwordx4 v[94:97], v[0:1], off offset:432
	global_load_dwordx4 v[98:101], v[0:1], off offset:416
	v_mul_u32_u24_sdwa v0, v17, s18 dst_sel:DWORD dst_unused:UNUSED_PAD src0_sel:WORD_0 src1_sel:DWORD
	v_sub_u16_sdwa v1, v17, v0 dst_sel:DWORD dst_unused:UNUSED_PAD src0_sel:DWORD src1_sel:WORD_1
	v_lshrrev_b16_e32 v1, 1, v1
	v_add_u16_sdwa v0, v1, v0 dst_sel:DWORD dst_unused:UNUSED_PAD src0_sel:DWORD src1_sel:WORD_1
	v_lshrrev_b16_e32 v106, 5, v0
	v_mul_lo_u16_e32 v0, 39, v106
	v_sub_u16_e32 v107, v17, v0
	v_lshlrev_b16_e32 v0, 5, v107
	v_add_co_u32_e64 v0, s[2:3], s4, v0
	v_addc_co_u32_e64 v1, s[2:3], 0, v12, s[2:3]
	global_load_dwordx4 v[110:113], v[0:1], off offset:432
	global_load_dwordx4 v[176:179], v[0:1], off offset:416
	v_mul_u32_u24_sdwa v0, v18, s18 dst_sel:DWORD dst_unused:UNUSED_PAD src0_sel:WORD_0 src1_sel:DWORD
	v_sub_u16_sdwa v1, v18, v0 dst_sel:DWORD dst_unused:UNUSED_PAD src0_sel:DWORD src1_sel:WORD_1
	v_lshrrev_b16_e32 v1, 1, v1
	v_add_u16_sdwa v0, v1, v0 dst_sel:DWORD dst_unused:UNUSED_PAD src0_sel:DWORD src1_sel:WORD_1
	v_lshrrev_b16_e32 v108, 5, v0
	v_mul_lo_u16_e32 v0, 39, v108
	v_sub_u16_e32 v109, v18, v0
	v_lshlrev_b16_e32 v0, 5, v109
	v_add_co_u32_e64 v0, s[2:3], s4, v0
	v_addc_co_u32_e64 v1, s[2:3], 0, v12, s[2:3]
	global_load_dwordx4 v[184:187], v[0:1], off offset:416
	global_load_dwordx4 v[180:183], v[0:1], off offset:432
	ds_read_b128 v[20:23], v88
	ds_read_b128 v[24:27], v88 offset:1872
	ds_read_b128 v[28:31], v88 offset:18720
	;; [unrolled: 1-line block ×14, first 2 shown]
	v_mul_u32_u24_sdwa v13, v13, s16 dst_sel:DWORD dst_unused:UNUSED_PAD src0_sel:WORD_0 src1_sel:DWORD
	v_add_lshl_u32 v138, v13, v19, 4
	v_mul_u32_u24_sdwa v13, v61, s16 dst_sel:DWORD dst_unused:UNUSED_PAD src0_sel:WORD_0 src1_sel:DWORD
	v_add_lshl_u32 v139, v13, v90, 4
	v_mad_legacy_u16 v13, v104, s16, v105
	v_lshlrev_b32_e32 v141, 4, v13
	s_waitcnt lgkmcnt(0)
	s_barrier
	s_waitcnt vmcnt(9)
	v_mul_f64 v[62:63], v[28:29], v[148:149]
	s_waitcnt vmcnt(8)
	v_mul_f64 v[14:15], v[54:55], v[160:161]
	v_fma_f64 v[14:15], v[52:53], v[158:159], -v[14:15]
	v_mul_f64 v[52:53], v[52:53], v[160:161]
	v_fmac_f64_e32 v[52:53], v[54:55], v[158:159]
	v_mul_f64 v[54:55], v[30:31], v[148:149]
	v_fma_f64 v[54:55], v[28:29], v[146:147], -v[54:55]
	v_fmac_f64_e32 v[62:63], v[30:31], v[146:147]
	v_add_f64 v[30:31], v[14:15], v[54:55]
	s_waitcnt vmcnt(7)
	v_accvgpr_write_b32 a113, v85
	s_waitcnt vmcnt(6)
	v_mul_f64 v[28:29], v[38:39], v[80:81]
	v_fma_f64 v[74:75], v[36:37], v[78:79], -v[28:29]
	v_mul_f64 v[76:77], v[36:37], v[80:81]
	v_accvgpr_write_b32 a117, v81
	v_mul_f64 v[28:29], v[34:35], v[84:85]
	v_accvgpr_write_b32 a116, v80
	v_accvgpr_write_b32 a115, v79
	;; [unrolled: 1-line block ×3, first 2 shown]
	v_fmac_f64_e32 v[76:77], v[38:39], v[78:79]
	v_fma_f64 v[78:79], v[32:33], v[82:83], -v[28:29]
	v_mul_f64 v[80:81], v[32:33], v[84:85]
	v_accvgpr_write_b32 a112, v84
	v_accvgpr_write_b32 a111, v83
	;; [unrolled: 1-line block ×3, first 2 shown]
	s_waitcnt vmcnt(4)
	v_mul_f64 v[28:29], v[42:43], v[100:101]
	v_fmac_f64_e32 v[80:81], v[34:35], v[82:83]
	v_fma_f64 v[82:83], v[40:41], v[98:99], -v[28:29]
	v_mul_f64 v[28:29], v[46:47], v[96:97]
	v_fma_f64 v[86:87], v[44:45], v[94:95], -v[28:29]
	v_mul_f64 v[92:93], v[44:45], v[96:97]
	v_accvgpr_write_b32 a121, v97
	v_accvgpr_write_b32 a120, v96
	;; [unrolled: 1-line block ×4, first 2 shown]
	v_fmac_f64_e32 v[92:93], v[46:47], v[94:95]
	v_accvgpr_write_b32 a125, v101
	v_mul_f64 v[84:85], v[40:41], v[100:101]
	s_waitcnt vmcnt(2)
	v_mul_f64 v[28:29], v[58:59], v[178:179]
	v_fma_f64 v[94:95], v[56:57], v[176:177], -v[28:29]
	v_mul_f64 v[96:97], v[56:57], v[178:179]
	v_mul_f64 v[28:29], v[50:51], v[112:113]
	v_fmac_f64_e32 v[96:97], v[58:59], v[176:177]
	v_fma_f64 v[58:59], v[48:49], v[110:111], -v[28:29]
	v_accvgpr_write_b32 a124, v100
	v_accvgpr_write_b32 a123, v99
	;; [unrolled: 1-line block ×6, first 2 shown]
	s_waitcnt vmcnt(1)
	v_mul_f64 v[28:29], v[68:69], v[186:187]
	v_fma_f64 v[100:101], v[66:67], v[184:185], -v[28:29]
	s_waitcnt vmcnt(0)
	v_mul_f64 v[28:29], v[72:73], v[182:183]
	v_accvgpr_write_b32 a133, v179
	v_fma_f64 v[176:177], v[70:71], v[180:181], -v[28:29]
	v_add_f64 v[28:29], v[20:21], v[14:15]
	v_fmac_f64_e32 v[20:21], -0.5, v[30:31]
	v_add_f64 v[30:31], v[52:53], -v[62:63]
	v_add_f64 v[34:35], v[52:53], v[62:63]
	v_fma_f64 v[32:33], s[12:13], v[30:31], v[20:21]
	v_fmac_f64_e32 v[20:21], s[14:15], v[30:31]
	v_add_f64 v[30:31], v[22:23], v[52:53]
	v_fmac_f64_e32 v[22:23], -0.5, v[34:35]
	v_add_f64 v[14:15], v[14:15], -v[54:55]
	v_fma_f64 v[34:35], s[14:15], v[14:15], v[22:23]
	v_fmac_f64_e32 v[22:23], s[12:13], v[14:15]
	v_add_f64 v[14:15], v[24:25], v[74:75]
	v_add_f64 v[36:37], v[14:15], v[78:79]
	;; [unrolled: 1-line block ×3, first 2 shown]
	v_fmac_f64_e32 v[24:25], -0.5, v[14:15]
	v_add_f64 v[14:15], v[76:77], -v[80:81]
	v_fma_f64 v[40:41], s[12:13], v[14:15], v[24:25]
	v_fmac_f64_e32 v[24:25], s[14:15], v[14:15]
	v_add_f64 v[14:15], v[26:27], v[76:77]
	v_add_f64 v[38:39], v[14:15], v[80:81]
	;; [unrolled: 1-line block ×3, first 2 shown]
	v_fmac_f64_e32 v[26:27], -0.5, v[14:15]
	v_add_f64 v[14:15], v[74:75], -v[78:79]
	v_fmac_f64_e32 v[84:85], v[42:43], v[98:99]
	v_fma_f64 v[42:43], s[14:15], v[14:15], v[26:27]
	v_fmac_f64_e32 v[26:27], s[12:13], v[14:15]
	v_add_f64 v[14:15], v[8:9], v[82:83]
	v_add_f64 v[44:45], v[14:15], v[86:87]
	;; [unrolled: 1-line block ×3, first 2 shown]
	v_fmac_f64_e32 v[8:9], -0.5, v[14:15]
	v_add_f64 v[14:15], v[84:85], -v[92:93]
	v_mul_f64 v[98:99], v[48:49], v[112:113]
	v_fma_f64 v[48:49], s[12:13], v[14:15], v[8:9]
	v_fmac_f64_e32 v[8:9], s[14:15], v[14:15]
	v_add_f64 v[14:15], v[10:11], v[84:85]
	v_add_f64 v[46:47], v[14:15], v[92:93]
	v_add_f64 v[14:15], v[84:85], v[92:93]
	v_fmac_f64_e32 v[10:11], -0.5, v[14:15]
	v_add_f64 v[14:15], v[82:83], -v[86:87]
	v_fmac_f64_e32 v[98:99], v[50:51], v[110:111]
	v_fma_f64 v[50:51], s[14:15], v[14:15], v[10:11]
	v_fmac_f64_e32 v[10:11], s[12:13], v[14:15]
	v_add_f64 v[14:15], v[4:5], v[94:95]
	v_add_f64 v[52:53], v[14:15], v[58:59]
	;; [unrolled: 1-line block ×3, first 2 shown]
	v_fmac_f64_e32 v[4:5], -0.5, v[14:15]
	v_add_f64 v[14:15], v[96:97], -v[98:99]
	v_fma_f64 v[56:57], s[12:13], v[14:15], v[4:5]
	v_fmac_f64_e32 v[4:5], s[14:15], v[14:15]
	v_add_f64 v[14:15], v[6:7], v[96:97]
	v_add_f64 v[28:29], v[28:29], v[54:55]
	;; [unrolled: 1-line block ×4, first 2 shown]
	v_fmac_f64_e32 v[6:7], -0.5, v[14:15]
	v_add_f64 v[14:15], v[94:95], -v[58:59]
	v_mul_f64 v[102:103], v[66:67], v[186:187]
	v_mul_f64 v[178:179], v[70:71], v[182:183]
	v_fma_f64 v[58:59], s[14:15], v[14:15], v[6:7]
	v_fmac_f64_e32 v[6:7], s[12:13], v[14:15]
	v_add_f64 v[14:15], v[0:1], v[100:101]
	v_fmac_f64_e32 v[102:103], v[68:69], v[184:185]
	v_fmac_f64_e32 v[178:179], v[72:73], v[180:181]
	v_add_f64 v[30:31], v[30:31], v[62:63]
	v_add_f64 v[66:67], v[14:15], v[176:177]
	;; [unrolled: 1-line block ×3, first 2 shown]
	v_fmac_f64_e32 v[0:1], -0.5, v[14:15]
	v_add_f64 v[14:15], v[102:103], -v[178:179]
	ds_write_b128 v138, v[28:31]
	ds_write_b128 v138, v[32:35] offset:624
	ds_write_b128 v138, v[20:23] offset:1248
	ds_write_b128 v139, v[36:39]
	ds_write_b128 v139, v[40:43] offset:624
	ds_write_b128 v139, v[24:27] offset:1248
	;; [unrolled: 3-line block ×3, first 2 shown]
	v_mad_legacy_u16 v8, v106, s16, v107
	v_fma_f64 v[70:71], s[12:13], v[14:15], v[0:1]
	v_fmac_f64_e32 v[0:1], s[14:15], v[14:15]
	v_add_f64 v[14:15], v[2:3], v[102:103]
	v_lshlrev_b32_e32 v162, 4, v8
	v_add_f64 v[68:69], v[14:15], v[178:179]
	v_add_f64 v[14:15], v[102:103], v[178:179]
	ds_write_b128 v162, v[52:55]
	ds_write_b128 v162, v[56:59] offset:624
	ds_write_b128 v162, v[4:7] offset:1248
	v_mad_legacy_u16 v4, v108, s16, v109
	v_fmac_f64_e32 v[2:3], -0.5, v[14:15]
	v_add_f64 v[14:15], v[100:101], -v[176:177]
	v_lshlrev_b32_e32 v163, 4, v4
	v_accvgpr_write_b32 a134, v180
	v_fma_f64 v[72:73], s[14:15], v[14:15], v[2:3]
	v_fmac_f64_e32 v[2:3], s[12:13], v[14:15]
	ds_write_b128 v163, v[66:69]
	ds_write_b128 v163, v[70:73] offset:624
	ds_write_b128 v163, v[0:3] offset:1248
	v_lshlrev_b32_e32 v0, 5, v89
	v_accvgpr_write_b32 a135, v181
	v_accvgpr_write_b32 a136, v182
	;; [unrolled: 1-line block ×3, first 2 shown]
	s_waitcnt lgkmcnt(0)
	s_barrier
	global_load_dwordx4 v[176:179], v0, s[4:5] offset:1680
	global_load_dwordx4 v[180:183], v0, s[4:5] offset:1664
	s_mov_b32 s5, 0x8c09
	v_mul_u32_u24_sdwa v0, v16, s5 dst_sel:DWORD dst_unused:UNUSED_PAD src0_sel:WORD_0 src1_sel:DWORD
	v_lshrrev_b32_e32 v0, 22, v0
	v_mul_lo_u16_e32 v0, 0x75, v0
	v_sub_u16_e32 v13, v16, v0
	v_lshlrev_b16_e32 v0, 5, v13
	v_add_co_u32_e64 v0, s[2:3], s4, v0
	v_accvgpr_write_b32 a138, v184
	v_addc_co_u32_e64 v1, s[2:3], 0, v12, s[2:3]
	v_accvgpr_write_b32 a139, v185
	v_accvgpr_write_b32 a140, v186
	;; [unrolled: 1-line block ×3, first 2 shown]
	global_load_dwordx4 v[184:187], v[0:1], off offset:1680
	global_load_dwordx4 v[188:191], v[0:1], off offset:1664
	v_mul_u32_u24_sdwa v0, v17, s5 dst_sel:DWORD dst_unused:UNUSED_PAD src0_sel:WORD_0 src1_sel:DWORD
	v_lshrrev_b32_e32 v0, 22, v0
	v_mul_lo_u16_e32 v0, 0x75, v0
	v_sub_u16_e32 v17, v17, v0
	v_lshlrev_b16_e32 v0, 5, v17
	v_add_co_u32_e64 v0, s[2:3], s4, v0
	v_addc_co_u32_e64 v1, s[2:3], 0, v12, s[2:3]
	global_load_dwordx4 v[192:195], v[0:1], off offset:1680
	global_load_dwordx4 v[196:199], v[0:1], off offset:1664
	v_mul_u32_u24_sdwa v0, v18, s5 dst_sel:DWORD dst_unused:UNUSED_PAD src0_sel:WORD_0 src1_sel:DWORD
	v_lshrrev_b32_e32 v0, 22, v0
	v_mul_lo_u16_e32 v0, 0x75, v0
	v_sub_u16_e32 v61, v18, v0
	v_lshlrev_b16_e32 v0, 5, v61
	v_add_co_u32_e64 v0, s[2:3], s4, v0
	v_addc_co_u32_e64 v1, s[2:3], 0, v12, s[2:3]
	global_load_dwordx4 v[204:207], v[0:1], off offset:1664
	global_load_dwordx4 v[200:203], v[0:1], off offset:1680
	ds_read_b128 v[18:21], v88
	ds_read_b128 v[22:25], v88 offset:1872
	ds_read_b128 v[26:29], v88 offset:18720
	;; [unrolled: 1-line block ×14, first 2 shown]
	v_lshlrev_b32_e32 v172, 4, v13
	v_lshlrev_b32_e32 v173, 4, v17
	;; [unrolled: 1-line block ×3, first 2 shown]
	s_waitcnt lgkmcnt(0)
	s_barrier
	s_movk_i32 s16, 0x1000
	s_movk_i32 s5, 0x1520
	v_accvgpr_write_b32 a129, v113
	v_accvgpr_write_b32 a128, v112
	;; [unrolled: 1-line block ×4, first 2 shown]
	s_waitcnt vmcnt(7)
	v_mul_f64 v[58:59], v[26:27], v[178:179]
	s_waitcnt vmcnt(6)
	v_mul_f64 v[14:15], v[52:53], v[182:183]
	v_fma_f64 v[14:15], v[50:51], v[180:181], -v[14:15]
	v_mul_f64 v[50:51], v[50:51], v[182:183]
	v_fmac_f64_e32 v[50:51], v[52:53], v[180:181]
	v_mul_f64 v[52:53], v[28:29], v[178:179]
	v_fma_f64 v[52:53], v[26:27], v[176:177], -v[52:53]
	v_mul_f64 v[26:27], v[36:37], v[182:183]
	v_fma_f64 v[62:63], v[34:35], v[180:181], -v[26:27]
	;; [unrolled: 2-line block ×3, first 2 shown]
	v_fmac_f64_e32 v[58:59], v[28:29], v[176:177]
	v_mul_f64 v[78:79], v[30:31], v[178:179]
	v_add_f64 v[28:29], v[14:15], v[52:53]
	v_fmac_f64_e32 v[78:79], v[32:33], v[176:177]
	v_add_f64 v[32:33], v[50:51], v[58:59]
	s_waitcnt vmcnt(4)
	v_mul_f64 v[26:27], v[40:41], v[190:191]
	v_fma_f64 v[80:81], v[38:39], v[188:189], -v[26:27]
	v_mul_f64 v[26:27], v[44:45], v[186:187]
	v_fma_f64 v[84:85], v[42:43], v[184:185], -v[26:27]
	v_mul_f64 v[74:75], v[34:35], v[182:183]
	v_fmac_f64_e32 v[74:75], v[36:37], v[180:181]
	v_mul_f64 v[82:83], v[38:39], v[190:191]
	v_fmac_f64_e32 v[82:83], v[40:41], v[188:189]
	;; [unrolled: 2-line block ×3, first 2 shown]
	s_waitcnt vmcnt(2)
	v_mul_f64 v[26:27], v[56:57], v[198:199]
	v_fma_f64 v[92:93], v[54:55], v[196:197], -v[26:27]
	v_mul_f64 v[94:95], v[54:55], v[198:199]
	v_mul_f64 v[26:27], v[48:49], v[194:195]
	v_fmac_f64_e32 v[94:95], v[56:57], v[196:197]
	v_fma_f64 v[56:57], v[46:47], v[192:193], -v[26:27]
	v_mul_f64 v[96:97], v[46:47], v[194:195]
	v_fmac_f64_e32 v[96:97], v[48:49], v[192:193]
	s_waitcnt vmcnt(1)
	v_mul_f64 v[26:27], v[68:69], v[206:207]
	v_fma_f64 v[98:99], v[66:67], v[204:205], -v[26:27]
	s_waitcnt vmcnt(0)
	v_mul_f64 v[26:27], v[72:73], v[202:203]
	v_fma_f64 v[102:103], v[70:71], v[200:201], -v[26:27]
	v_add_f64 v[26:27], v[18:19], v[14:15]
	v_fmac_f64_e32 v[18:19], -0.5, v[28:29]
	v_add_f64 v[28:29], v[50:51], -v[58:59]
	v_fma_f64 v[30:31], s[12:13], v[28:29], v[18:19]
	v_fmac_f64_e32 v[18:19], s[14:15], v[28:29]
	v_add_f64 v[28:29], v[20:21], v[50:51]
	v_fmac_f64_e32 v[20:21], -0.5, v[32:33]
	v_add_f64 v[14:15], v[14:15], -v[52:53]
	v_fma_f64 v[32:33], s[14:15], v[14:15], v[20:21]
	v_fmac_f64_e32 v[20:21], s[12:13], v[14:15]
	v_add_f64 v[14:15], v[22:23], v[62:63]
	v_add_f64 v[34:35], v[14:15], v[76:77]
	v_add_f64 v[14:15], v[62:63], v[76:77]
	v_fmac_f64_e32 v[22:23], -0.5, v[14:15]
	v_add_f64 v[14:15], v[74:75], -v[78:79]
	v_fma_f64 v[38:39], s[12:13], v[14:15], v[22:23]
	v_fmac_f64_e32 v[22:23], s[14:15], v[14:15]
	v_add_f64 v[14:15], v[24:25], v[74:75]
	v_add_f64 v[36:37], v[14:15], v[78:79]
	;; [unrolled: 7-line block ×6, first 2 shown]
	v_add_f64 v[52:53], v[14:15], v[96:97]
	v_add_f64 v[14:15], v[94:95], v[96:97]
	v_fmac_f64_e32 v[6:7], -0.5, v[14:15]
	v_add_f64 v[14:15], v[92:93], -v[56:57]
	v_mul_f64 v[100:101], v[66:67], v[206:207]
	v_mul_f64 v[208:209], v[70:71], v[202:203]
	v_fma_f64 v[56:57], s[14:15], v[14:15], v[6:7]
	v_fmac_f64_e32 v[6:7], s[12:13], v[14:15]
	v_add_f64 v[14:15], v[0:1], v[98:99]
	v_fmac_f64_e32 v[100:101], v[68:69], v[204:205]
	v_fmac_f64_e32 v[208:209], v[72:73], v[200:201]
	v_add_f64 v[66:67], v[14:15], v[102:103]
	v_add_f64 v[14:15], v[98:99], v[102:103]
	v_fmac_f64_e32 v[0:1], -0.5, v[14:15]
	v_add_f64 v[14:15], v[100:101], -v[208:209]
	v_fma_f64 v[70:71], s[12:13], v[14:15], v[0:1]
	v_fmac_f64_e32 v[0:1], s[14:15], v[14:15]
	v_add_f64 v[14:15], v[2:3], v[100:101]
	v_add_f64 v[68:69], v[14:15], v[208:209]
	;; [unrolled: 1-line block ×4, first 2 shown]
	v_fmac_f64_e32 v[2:3], -0.5, v[14:15]
	v_add_f64 v[14:15], v[98:99], -v[102:103]
	v_fma_f64 v[72:73], s[14:15], v[14:15], v[2:3]
	v_fmac_f64_e32 v[2:3], s[12:13], v[14:15]
	ds_write_b128 v88, v[26:29]
	ds_write_b128 v88, v[30:33] offset:1872
	ds_write_b128 v88, v[18:21] offset:3744
	;; [unrolled: 1-line block ×14, first 2 shown]
	v_lshlrev_b32_e32 v0, 6, v89
	v_add_co_u32_e64 v2, s[2:3], s4, v0
	v_addc_co_u32_e64 v3, s[2:3], 0, v12, s[2:3]
	v_add_co_u32_e64 v0, s[2:3], s16, v2
	v_addc_co_u32_e64 v1, s[2:3], 0, v3, s[2:3]
	s_waitcnt lgkmcnt(0)
	s_barrier
	global_load_dwordx4 v[212:215], v[0:1], off offset:1312
	v_add_co_u32_e64 v0, s[2:3], s5, v2
	v_addc_co_u32_e64 v1, s[2:3], 0, v3, s[2:3]
	global_load_dwordx4 v[208:211], v[0:1], off offset:48
	global_load_dwordx4 v[216:219], v[0:1], off offset:32
	global_load_dwordx4 v[220:223], v[0:1], off offset:16
	v_lshlrev_b32_e32 v0, 6, v60
	v_add_co_u32_e64 v2, s[2:3], s4, v0
	v_addc_co_u32_e64 v3, s[2:3], 0, v12, s[2:3]
	v_add_co_u32_e64 v0, s[2:3], s16, v2
	v_addc_co_u32_e64 v1, s[2:3], 0, v3, s[2:3]
	global_load_dwordx4 v[224:227], v[0:1], off offset:1312
	v_add_co_u32_e64 v0, s[2:3], s5, v2
	v_addc_co_u32_e64 v1, s[2:3], 0, v3, s[2:3]
	global_load_dwordx4 v[228:231], v[0:1], off offset:32
	global_load_dwordx4 v[236:239], v[0:1], off offset:16
	;; [unrolled: 1-line block ×3, first 2 shown]
	v_lshlrev_b32_e32 v0, 6, v16
	v_add_co_u32_e64 v2, s[2:3], s4, v0
	v_addc_co_u32_e64 v3, s[2:3], 0, v12, s[2:3]
	v_add_co_u32_e64 v0, s[2:3], s16, v2
	v_addc_co_u32_e64 v1, s[2:3], 0, v3, s[2:3]
	global_load_dwordx4 v[240:243], v[0:1], off offset:1312
	v_add_co_u32_e64 v0, s[2:3], s5, v2
	v_addc_co_u32_e64 v1, s[2:3], 0, v3, s[2:3]
	global_load_dwordx4 v[252:255], v[0:1], off offset:16
	global_load_dwordx4 v[248:251], v[0:1], off offset:32
	;; [unrolled: 1-line block ×3, first 2 shown]
	ds_read_b128 v[12:15], v88
	ds_read_b128 v[8:11], v88 offset:1872
	ds_read_b128 v[4:7], v88 offset:11232
	;; [unrolled: 1-line block ×14, first 2 shown]
	s_mov_b32 s12, 0x134454ff
	s_mov_b32 s13, 0x3fee6f0e
	;; [unrolled: 1-line block ×9, first 2 shown]
	s_waitcnt vmcnt(11) lgkmcnt(8)
	v_mul_f64 v[52:53], v[30:31], v[214:215]
	v_fma_f64 v[70:71], v[28:29], v[212:213], -v[52:53]
	v_mul_f64 v[72:73], v[28:29], v[214:215]
	s_waitcnt vmcnt(10)
	v_mul_f64 v[84:85], v[20:21], v[210:211]
	v_fmac_f64_e32 v[72:73], v[30:31], v[212:213]
	s_waitcnt vmcnt(8)
	v_mul_f64 v[76:77], v[4:5], v[222:223]
	v_mul_f64 v[28:29], v[6:7], v[222:223]
	v_fmac_f64_e32 v[76:77], v[6:7], v[220:221]
	v_fma_f64 v[74:75], v[4:5], v[220:221], -v[28:29]
	s_waitcnt lgkmcnt(4)
	v_mul_f64 v[4:5], v[42:43], v[218:219]
	v_fma_f64 v[78:79], v[40:41], v[216:217], -v[4:5]
	v_mul_f64 v[80:81], v[40:41], v[218:219]
	v_mul_f64 v[4:5], v[22:23], v[210:211]
	v_fmac_f64_e32 v[84:85], v[22:23], v[208:209]
	v_fmac_f64_e32 v[80:81], v[42:43], v[216:217]
	v_fma_f64 v[82:83], v[20:21], v[208:209], -v[4:5]
	v_add_f64 v[22:23], v[70:71], -v[74:75]
	v_add_f64 v[28:29], v[78:79], -v[82:83]
	s_waitcnt vmcnt(6) lgkmcnt(2)
	v_mul_f64 v[56:57], v[48:49], v[230:231]
	s_waitcnt vmcnt(5)
	v_mul_f64 v[6:7], v[18:19], v[238:239]
	v_fma_f64 v[94:95], v[16:17], v[236:237], -v[6:7]
	v_mul_f64 v[6:7], v[16:17], v[238:239]
	v_mul_f64 v[16:17], v[50:51], v[230:231]
	v_fma_f64 v[96:97], v[48:49], v[228:229], -v[16:17]
	s_waitcnt vmcnt(4)
	v_mul_f64 v[16:17], v[26:27], v[234:235]
	v_fma_f64 v[98:99], v[24:25], v[232:233], -v[16:17]
	v_fmac_f64_e32 v[56:57], v[50:51], v[228:229]
	v_fmac_f64_e32 v[6:7], v[18:19], v[236:237]
	v_mul_f64 v[58:59], v[24:25], v[234:235]
	v_add_f64 v[18:19], v[72:73], -v[84:85]
	s_waitcnt vmcnt(3)
	v_mul_f64 v[16:17], v[38:39], v[242:243]
	v_fma_f64 v[48:49], v[36:37], v[240:241], -v[16:17]
	v_fmac_f64_e32 v[58:59], v[26:27], v[232:233]
	s_waitcnt vmcnt(2)
	v_mul_f64 v[16:17], v[46:47], v[254:255]
	v_fma_f64 v[50:51], v[44:45], v[252:253], -v[16:17]
	s_waitcnt vmcnt(1) lgkmcnt(1)
	v_mul_f64 v[16:17], v[62:63], v[250:251]
	v_fma_f64 v[52:53], v[60:61], v[248:249], -v[16:17]
	s_waitcnt vmcnt(0) lgkmcnt(0)
	v_mul_f64 v[16:17], v[68:69], v[246:247]
	v_fma_f64 v[54:55], v[66:67], v[244:245], -v[16:17]
	v_add_f64 v[16:17], v[74:75], v[78:79]
	v_fma_f64 v[16:17], -0.5, v[16:17], v[12:13]
	v_fma_f64 v[20:21], s[12:13], v[18:19], v[16:17]
	v_add_f64 v[24:25], v[82:83], -v[78:79]
	v_add_f64 v[26:27], v[76:77], -v[80:81]
	v_fmac_f64_e32 v[16:17], s[14:15], v[18:19]
	v_add_f64 v[22:23], v[22:23], v[24:25]
	v_fmac_f64_e32 v[20:21], s[2:3], v[26:27]
	v_fmac_f64_e32 v[16:17], s[18:19], v[26:27]
	v_add_f64 v[24:25], v[70:71], v[82:83]
	v_fmac_f64_e32 v[20:21], s[4:5], v[22:23]
	v_fmac_f64_e32 v[16:17], s[4:5], v[22:23]
	v_add_f64 v[22:23], v[12:13], v[70:71]
	v_fmac_f64_e32 v[12:13], -0.5, v[24:25]
	v_add_f64 v[24:25], v[74:75], -v[70:71]
	v_add_f64 v[28:29], v[24:25], v[28:29]
	v_fma_f64 v[24:25], s[14:15], v[26:27], v[12:13]
	v_fmac_f64_e32 v[12:13], s[12:13], v[26:27]
	v_fmac_f64_e32 v[24:25], s[2:3], v[18:19]
	;; [unrolled: 1-line block ×3, first 2 shown]
	v_add_f64 v[18:19], v[22:23], v[74:75]
	v_add_f64 v[22:23], v[14:15], v[72:73]
	;; [unrolled: 1-line block ×4, first 2 shown]
	v_mul_f64 v[4:5], v[34:35], v[226:227]
	v_fmac_f64_e32 v[24:25], s[4:5], v[28:29]
	v_fmac_f64_e32 v[12:13], s[4:5], v[28:29]
	v_add_f64 v[22:23], v[22:23], v[80:81]
	v_add_f64 v[28:29], v[18:19], v[82:83]
	;; [unrolled: 1-line block ×3, first 2 shown]
	v_fma_f64 v[92:93], v[32:33], v[224:225], -v[4:5]
	v_mul_f64 v[4:5], v[32:33], v[226:227]
	v_add_f64 v[30:31], v[22:23], v[84:85]
	v_fma_f64 v[18:19], -0.5, v[18:19], v[14:15]
	v_add_f64 v[32:33], v[70:71], -v[82:83]
	v_add_f64 v[22:23], v[72:73], -v[76:77]
	;; [unrolled: 1-line block ×3, first 2 shown]
	v_fmac_f64_e32 v[4:5], v[34:35], v[224:225]
	v_add_f64 v[34:35], v[74:75], -v[78:79]
	v_add_f64 v[26:27], v[22:23], v[26:27]
	v_fma_f64 v[22:23], s[14:15], v[32:33], v[18:19]
	v_fmac_f64_e32 v[18:19], s[12:13], v[32:33]
	v_fmac_f64_e32 v[22:23], s[18:19], v[34:35]
	v_fmac_f64_e32 v[18:19], s[2:3], v[34:35]
	v_fmac_f64_e32 v[22:23], s[4:5], v[26:27]
	v_fmac_f64_e32 v[18:19], s[4:5], v[26:27]
	v_add_f64 v[26:27], v[72:73], v[84:85]
	v_fmac_f64_e32 v[14:15], -0.5, v[26:27]
	v_mul_f64 v[40:41], v[36:37], v[242:243]
	v_fma_f64 v[26:27], s[12:13], v[34:35], v[14:15]
	v_fmac_f64_e32 v[14:15], s[14:15], v[34:35]
	v_fmac_f64_e32 v[40:41], v[38:39], v[240:241]
	;; [unrolled: 1-line block ×3, first 2 shown]
	v_add_f64 v[36:37], v[76:77], -v[72:73]
	v_add_f64 v[38:39], v[80:81], -v[84:85]
	v_fmac_f64_e32 v[14:15], s[2:3], v[32:33]
	v_add_f64 v[32:33], v[94:95], v[96:97]
	v_mul_f64 v[42:43], v[44:45], v[254:255]
	v_mul_f64 v[44:45], v[60:61], v[250:251]
	v_add_f64 v[36:37], v[36:37], v[38:39]
	v_fma_f64 v[32:33], -0.5, v[32:33], v[8:9]
	v_add_f64 v[34:35], v[4:5], -v[58:59]
	v_fmac_f64_e32 v[44:45], v[62:63], v[248:249]
	v_fmac_f64_e32 v[26:27], s[4:5], v[36:37]
	;; [unrolled: 1-line block ×3, first 2 shown]
	v_fma_f64 v[36:37], s[12:13], v[34:35], v[32:33]
	v_add_f64 v[38:39], v[92:93], -v[94:95]
	v_add_f64 v[60:61], v[98:99], -v[96:97]
	;; [unrolled: 1-line block ×3, first 2 shown]
	v_fmac_f64_e32 v[32:33], s[14:15], v[34:35]
	v_add_f64 v[38:39], v[38:39], v[60:61]
	v_fmac_f64_e32 v[36:37], s[2:3], v[62:63]
	v_fmac_f64_e32 v[32:33], s[18:19], v[62:63]
	v_add_f64 v[60:61], v[92:93], v[98:99]
	v_fmac_f64_e32 v[42:43], v[46:47], v[252:253]
	v_mul_f64 v[46:47], v[66:67], v[246:247]
	v_fmac_f64_e32 v[36:37], s[4:5], v[38:39]
	v_fmac_f64_e32 v[32:33], s[4:5], v[38:39]
	v_add_f64 v[38:39], v[8:9], v[92:93]
	v_fmac_f64_e32 v[8:9], -0.5, v[60:61]
	v_add_f64 v[60:61], v[94:95], -v[92:93]
	v_add_f64 v[66:67], v[96:97], -v[98:99]
	v_add_f64 v[66:67], v[60:61], v[66:67]
	v_fma_f64 v[60:61], s[14:15], v[62:63], v[8:9]
	v_fmac_f64_e32 v[8:9], s[12:13], v[62:63]
	v_fmac_f64_e32 v[60:61], s[2:3], v[34:35]
	;; [unrolled: 1-line block ×3, first 2 shown]
	v_add_f64 v[34:35], v[38:39], v[94:95]
	v_add_f64 v[38:39], v[10:11], v[4:5]
	;; [unrolled: 1-line block ×4, first 2 shown]
	v_fmac_f64_e32 v[60:61], s[4:5], v[66:67]
	v_fmac_f64_e32 v[8:9], s[4:5], v[66:67]
	v_add_f64 v[38:39], v[38:39], v[56:57]
	v_add_f64 v[66:67], v[34:35], v[98:99]
	;; [unrolled: 1-line block ×3, first 2 shown]
	v_fmac_f64_e32 v[46:47], v[68:69], v[244:245]
	v_add_f64 v[68:69], v[38:39], v[58:59]
	v_fma_f64 v[34:35], -0.5, v[34:35], v[10:11]
	v_add_f64 v[70:71], v[92:93], -v[98:99]
	v_add_f64 v[38:39], v[4:5], -v[6:7]
	;; [unrolled: 1-line block ×4, first 2 shown]
	v_add_f64 v[62:63], v[38:39], v[62:63]
	v_fma_f64 v[38:39], s[14:15], v[70:71], v[34:35]
	v_fmac_f64_e32 v[34:35], s[12:13], v[70:71]
	v_fmac_f64_e32 v[38:39], s[18:19], v[72:73]
	;; [unrolled: 1-line block ×5, first 2 shown]
	v_add_f64 v[62:63], v[4:5], v[58:59]
	v_fmac_f64_e32 v[10:11], -0.5, v[62:63]
	v_fma_f64 v[62:63], s[12:13], v[72:73], v[10:11]
	v_add_f64 v[4:5], v[6:7], -v[4:5]
	v_add_f64 v[6:7], v[56:57], -v[58:59]
	v_fmac_f64_e32 v[10:11], s[14:15], v[72:73]
	v_fmac_f64_e32 v[62:63], s[18:19], v[70:71]
	v_add_f64 v[4:5], v[4:5], v[6:7]
	v_fmac_f64_e32 v[10:11], s[2:3], v[70:71]
	v_fmac_f64_e32 v[62:63], s[4:5], v[4:5]
	;; [unrolled: 1-line block ×3, first 2 shown]
	v_add_f64 v[4:5], v[50:51], v[52:53]
	v_fma_f64 v[4:5], -0.5, v[4:5], v[0:1]
	v_add_f64 v[6:7], v[40:41], -v[46:47]
	v_fma_f64 v[56:57], s[12:13], v[6:7], v[4:5]
	v_add_f64 v[58:59], v[48:49], -v[50:51]
	v_add_f64 v[70:71], v[54:55], -v[52:53]
	;; [unrolled: 1-line block ×3, first 2 shown]
	v_fmac_f64_e32 v[4:5], s[14:15], v[6:7]
	v_add_f64 v[58:59], v[58:59], v[70:71]
	v_fmac_f64_e32 v[56:57], s[2:3], v[72:73]
	v_fmac_f64_e32 v[4:5], s[18:19], v[72:73]
	v_add_f64 v[70:71], v[48:49], v[54:55]
	v_fmac_f64_e32 v[56:57], s[4:5], v[58:59]
	v_fmac_f64_e32 v[4:5], s[4:5], v[58:59]
	v_add_f64 v[58:59], v[0:1], v[48:49]
	v_fmac_f64_e32 v[0:1], -0.5, v[70:71]
	v_add_f64 v[70:71], v[50:51], -v[48:49]
	v_add_f64 v[74:75], v[52:53], -v[54:55]
	v_add_f64 v[74:75], v[70:71], v[74:75]
	v_fma_f64 v[70:71], s[14:15], v[72:73], v[0:1]
	v_fmac_f64_e32 v[0:1], s[12:13], v[72:73]
	v_fmac_f64_e32 v[70:71], s[2:3], v[6:7]
	;; [unrolled: 1-line block ×3, first 2 shown]
	v_add_f64 v[6:7], v[58:59], v[50:51]
	v_add_f64 v[6:7], v[6:7], v[52:53]
	;; [unrolled: 1-line block ×3, first 2 shown]
	v_fmac_f64_e32 v[70:71], s[4:5], v[74:75]
	v_fmac_f64_e32 v[0:1], s[4:5], v[74:75]
	v_add_f64 v[58:59], v[58:59], v[42:43]
	v_add_f64 v[74:75], v[6:7], v[54:55]
	;; [unrolled: 1-line block ×4, first 2 shown]
	v_fma_f64 v[6:7], -0.5, v[6:7], v[2:3]
	v_add_f64 v[48:49], v[48:49], -v[54:55]
	v_add_f64 v[76:77], v[58:59], v[46:47]
	v_add_f64 v[50:51], v[50:51], -v[52:53]
	v_add_f64 v[52:53], v[40:41], -v[42:43]
	;; [unrolled: 1-line block ×3, first 2 shown]
	v_fma_f64 v[58:59], s[14:15], v[48:49], v[6:7]
	v_fmac_f64_e32 v[6:7], s[12:13], v[48:49]
	v_add_f64 v[52:53], v[52:53], v[54:55]
	v_fmac_f64_e32 v[58:59], s[18:19], v[50:51]
	v_fmac_f64_e32 v[6:7], s[2:3], v[50:51]
	;; [unrolled: 1-line block ×4, first 2 shown]
	v_add_f64 v[52:53], v[40:41], v[46:47]
	v_fmac_f64_e32 v[2:3], -0.5, v[52:53]
	v_fma_f64 v[72:73], s[12:13], v[50:51], v[2:3]
	v_add_f64 v[40:41], v[42:43], -v[40:41]
	v_add_f64 v[42:43], v[44:45], -v[46:47]
	v_fmac_f64_e32 v[2:3], s[14:15], v[50:51]
	v_mov_b32_e32 v54, s17
	v_fmac_f64_e32 v[72:73], s[18:19], v[48:49]
	v_add_f64 v[40:41], v[40:41], v[42:43]
	v_fmac_f64_e32 v[2:3], s[2:3], v[48:49]
	v_addc_co_u32_e64 v78, s[0:1], 0, v54, s[0:1]
	v_fmac_f64_e32 v[72:73], s[4:5], v[40:41]
	v_fmac_f64_e32 v[2:3], s[4:5], v[40:41]
	s_movk_i32 s4, 0x6000
	ds_write_b128 v88, v[28:31]
	ds_write_b128 v88, v[20:23] offset:5616
	ds_write_b128 v88, v[24:27] offset:11232
	;; [unrolled: 1-line block ×14, first 2 shown]
	v_add_co_u32_e64 v8, s[0:1], s4, v64
	v_addc_co_u32_e64 v9, s[0:1], 0, v78, s[0:1]
	s_waitcnt lgkmcnt(0)
	s_barrier
	s_movk_i32 s2, 0x6db0
	global_load_dwordx4 v[8:11], v[8:9], off offset:3504
	v_add_co_u32_e64 v36, s[0:1], s2, v64
	v_addc_co_u32_e64 v37, s[0:1], 0, v78, s[0:1]
	global_load_dwordx4 v[12:15], v[36:37], off offset:2160
	s_movk_i32 s0, 0x7000
	v_add_co_u32_e64 v16, s[0:1], s0, v64
	v_addc_co_u32_e64 v17, s[0:1], 0, v78, s[0:1]
	global_load_dwordx4 v[16:19], v[16:17], off offset:3728
	s_mov_b32 s0, 0x8000
	v_add_co_u32_e64 v24, s[0:1], s0, v64
	v_addc_co_u32_e64 v25, s[0:1], 0, v78, s[0:1]
	global_load_dwordx4 v[20:23], v[24:25], off offset:1792
	s_nop 0
	global_load_dwordx4 v[24:27], v[24:25], off offset:3952
	s_mov_b32 s0, 0x9000
	v_add_co_u32_e64 v28, s[0:1], s0, v64
	v_addc_co_u32_e64 v29, s[0:1], 0, v78, s[0:1]
	global_load_dwordx4 v[28:31], v[28:29], off offset:2016
	s_mov_b32 s0, 0xa000
	v_add_co_u32_e64 v38, s[0:1], s0, v64
	v_addc_co_u32_e64 v39, s[0:1], 0, v78, s[0:1]
	global_load_dwordx4 v[32:35], v[38:39], off offset:80
	s_nop 0
	global_load_dwordx4 v[38:41], v[38:39], off offset:2240
	s_mov_b32 s0, 0xb000
	v_add_co_u32_e64 v46, s[0:1], s0, v64
	v_addc_co_u32_e64 v47, s[0:1], 0, v78, s[0:1]
	global_load_dwordx4 v[42:45], v[46:47], off offset:304
	s_nop 0
	;; [unrolled: 6-line block ×3, first 2 shown]
	global_load_dwordx4 v[54:57], v[54:55], off offset:2688
	s_mov_b32 s0, 0xd000
	v_add_co_u32_e64 v58, s[0:1], s0, v64
	v_addc_co_u32_e64 v59, s[0:1], 0, v78, s[0:1]
	global_load_dwordx4 v[58:61], v[58:59], off offset:752
	ds_read_b128 v[66:69], v88
	ds_read_b128 v[70:73], v88 offset:2160
	s_waitcnt vmcnt(12) lgkmcnt(1)
	v_mul_f64 v[62:63], v[68:69], v[10:11]
	v_mul_f64 v[76:77], v[66:67], v[10:11]
	v_fma_f64 v[74:75], v[66:67], v[8:9], -v[62:63]
	v_fmac_f64_e32 v[76:77], v[68:69], v[8:9]
	ds_read_b128 v[66:69], v88 offset:4320
	s_waitcnt vmcnt(11) lgkmcnt(1)
	v_mul_f64 v[8:9], v[72:73], v[14:15]
	v_mul_f64 v[10:11], v[70:71], v[14:15]
	v_fma_f64 v[8:9], v[70:71], v[12:13], -v[8:9]
	v_fmac_f64_e32 v[10:11], v[72:73], v[12:13]
	ds_write_b128 v88, v[8:11] offset:2160
	ds_read_b128 v[8:11], v88 offset:6480
	s_waitcnt vmcnt(10) lgkmcnt(2)
	v_mul_f64 v[12:13], v[68:69], v[18:19]
	v_mul_f64 v[14:15], v[66:67], v[18:19]
	v_fma_f64 v[12:13], v[66:67], v[16:17], -v[12:13]
	v_fmac_f64_e32 v[14:15], v[68:69], v[16:17]
	ds_read_b128 v[16:19], v88 offset:8640
	ds_write_b128 v88, v[12:15] offset:4320
	s_waitcnt vmcnt(9) lgkmcnt(2)
	v_mul_f64 v[12:13], v[10:11], v[22:23]
	v_mul_f64 v[14:15], v[8:9], v[22:23]
	v_fma_f64 v[12:13], v[8:9], v[20:21], -v[12:13]
	v_fmac_f64_e32 v[14:15], v[10:11], v[20:21]
	ds_read_b128 v[8:11], v88 offset:10800
	ds_write_b128 v88, v[12:15] offset:6480
	;; [unrolled: 7-line block ×8, first 2 shown]
	s_waitcnt vmcnt(2) lgkmcnt(3)
	v_mul_f64 v[12:13], v[18:19], v[52:53]
	v_mul_f64 v[14:15], v[16:17], v[52:53]
	v_fma_f64 v[12:13], v[16:17], v[50:51], -v[12:13]
	v_fmac_f64_e32 v[14:15], v[18:19], v[50:51]
	ds_write_b128 v88, v[12:15] offset:21600
	ds_read_b128 v[12:15], v88 offset:25920
	s_waitcnt vmcnt(1) lgkmcnt(3)
	v_mul_f64 v[16:17], v[10:11], v[56:57]
	v_mul_f64 v[18:19], v[8:9], v[56:57]
	v_fma_f64 v[16:17], v[8:9], v[54:55], -v[16:17]
	v_fmac_f64_e32 v[18:19], v[10:11], v[54:55]
	s_waitcnt vmcnt(0) lgkmcnt(0)
	v_mul_f64 v[8:9], v[14:15], v[60:61]
	v_mul_f64 v[10:11], v[12:13], v[60:61]
	v_fma_f64 v[8:9], v[12:13], v[58:59], -v[8:9]
	v_fmac_f64_e32 v[10:11], v[14:15], v[58:59]
	ds_write_b128 v88, v[74:77]
	ds_write_b128 v88, v[16:19] offset:23760
	ds_write_b128 v88, v[8:11] offset:25920
	s_and_saveexec_b64 s[2:3], vcc
	s_cbranch_execz .LBB0_9
; %bb.8:
	global_load_dwordx4 v[12:15], v[36:37], off offset:1872
	ds_read_b128 v[8:11], v88 offset:1872
	s_waitcnt vmcnt(0) lgkmcnt(0)
	v_mul_f64 v[16:17], v[10:11], v[14:15]
	v_mul_f64 v[18:19], v[8:9], v[14:15]
	v_fma_f64 v[16:17], v[8:9], v[12:13], -v[16:17]
	v_fmac_f64_e32 v[18:19], v[10:11], v[12:13]
	global_load_dwordx4 v[12:15], v[36:37], off offset:4032
	ds_read_b128 v[8:11], v88 offset:4032
	ds_write_b128 v88, v[16:19] offset:1872
	s_waitcnt vmcnt(0) lgkmcnt(1)
	v_mul_f64 v[16:17], v[10:11], v[14:15]
	v_mul_f64 v[18:19], v[8:9], v[14:15]
	v_fma_f64 v[16:17], v[8:9], v[12:13], -v[16:17]
	v_fmac_f64_e32 v[18:19], v[10:11], v[12:13]
	v_add_co_u32_e64 v12, s[0:1], s16, v36
	v_addc_co_u32_e64 v13, s[0:1], 0, v37, s[0:1]
	global_load_dwordx4 v[12:15], v[12:13], off offset:2096
	ds_read_b128 v[8:11], v88 offset:6192
	s_movk_i32 s0, 0x2000
	v_add_co_u32_e64 v20, s[0:1], s0, v36
	ds_write_b128 v88, v[16:19] offset:4032
	v_addc_co_u32_e64 v21, s[0:1], 0, v37, s[0:1]
	s_movk_i32 s0, 0x3000
	s_waitcnt vmcnt(0) lgkmcnt(1)
	v_mul_f64 v[16:17], v[10:11], v[14:15]
	v_mul_f64 v[18:19], v[8:9], v[14:15]
	v_fma_f64 v[16:17], v[8:9], v[12:13], -v[16:17]
	v_fmac_f64_e32 v[18:19], v[10:11], v[12:13]
	global_load_dwordx4 v[12:15], v[20:21], off offset:160
	ds_read_b128 v[8:11], v88 offset:8352
	ds_write_b128 v88, v[16:19] offset:6192
	s_waitcnt vmcnt(0) lgkmcnt(1)
	v_mul_f64 v[16:17], v[10:11], v[14:15]
	v_mul_f64 v[18:19], v[8:9], v[14:15]
	v_fma_f64 v[16:17], v[8:9], v[12:13], -v[16:17]
	v_fmac_f64_e32 v[18:19], v[10:11], v[12:13]
	global_load_dwordx4 v[12:15], v[20:21], off offset:2320
	ds_read_b128 v[8:11], v88 offset:10512
	v_add_co_u32_e64 v20, s[0:1], s0, v36
	ds_write_b128 v88, v[16:19] offset:8352
	v_addc_co_u32_e64 v21, s[0:1], 0, v37, s[0:1]
	s_movk_i32 s0, 0x4000
	s_waitcnt vmcnt(0) lgkmcnt(1)
	v_mul_f64 v[16:17], v[10:11], v[14:15]
	v_mul_f64 v[18:19], v[8:9], v[14:15]
	v_fma_f64 v[16:17], v[8:9], v[12:13], -v[16:17]
	v_fmac_f64_e32 v[18:19], v[10:11], v[12:13]
	global_load_dwordx4 v[12:15], v[20:21], off offset:384
	ds_read_b128 v[8:11], v88 offset:12672
	ds_write_b128 v88, v[16:19] offset:10512
	s_waitcnt vmcnt(0) lgkmcnt(1)
	v_mul_f64 v[16:17], v[10:11], v[14:15]
	v_mul_f64 v[18:19], v[8:9], v[14:15]
	v_fma_f64 v[16:17], v[8:9], v[12:13], -v[16:17]
	v_fmac_f64_e32 v[18:19], v[10:11], v[12:13]
	global_load_dwordx4 v[12:15], v[20:21], off offset:2544
	ds_read_b128 v[8:11], v88 offset:14832
	;; [unrolled: 19-line block ×3, first 2 shown]
	v_add_co_u32_e64 v20, s[0:1], s0, v36
	ds_write_b128 v88, v[16:19] offset:16992
	v_addc_co_u32_e64 v21, s[0:1], 0, v37, s[0:1]
	s_waitcnt vmcnt(0) lgkmcnt(1)
	v_mul_f64 v[16:17], v[10:11], v[14:15]
	v_mul_f64 v[18:19], v[8:9], v[14:15]
	v_fma_f64 v[16:17], v[8:9], v[12:13], -v[16:17]
	v_fmac_f64_e32 v[18:19], v[10:11], v[12:13]
	global_load_dwordx4 v[12:15], v[20:21], off offset:832
	ds_read_b128 v[8:11], v88 offset:21312
	ds_write_b128 v88, v[16:19] offset:19152
	s_waitcnt vmcnt(0) lgkmcnt(1)
	v_mul_f64 v[16:17], v[10:11], v[14:15]
	v_mul_f64 v[18:19], v[8:9], v[14:15]
	v_fma_f64 v[16:17], v[8:9], v[12:13], -v[16:17]
	v_fmac_f64_e32 v[18:19], v[10:11], v[12:13]
	global_load_dwordx4 v[12:15], v[20:21], off offset:2992
	ds_read_b128 v[8:11], v88 offset:23472
	v_add_co_u32_e64 v20, s[0:1], s4, v36
	ds_write_b128 v88, v[16:19] offset:21312
	v_addc_co_u32_e64 v21, s[0:1], 0, v37, s[0:1]
	s_waitcnt vmcnt(0) lgkmcnt(1)
	v_mul_f64 v[16:17], v[10:11], v[14:15]
	v_mul_f64 v[18:19], v[8:9], v[14:15]
	v_fma_f64 v[16:17], v[8:9], v[12:13], -v[16:17]
	v_fmac_f64_e32 v[18:19], v[10:11], v[12:13]
	global_load_dwordx4 v[12:15], v[20:21], off offset:1056
	ds_read_b128 v[8:11], v88 offset:25632
	ds_write_b128 v88, v[16:19] offset:23472
	s_waitcnt vmcnt(0) lgkmcnt(1)
	v_mul_f64 v[16:17], v[10:11], v[14:15]
	v_mul_f64 v[18:19], v[8:9], v[14:15]
	v_fma_f64 v[16:17], v[8:9], v[12:13], -v[16:17]
	v_fmac_f64_e32 v[18:19], v[10:11], v[12:13]
	global_load_dwordx4 v[12:15], v[20:21], off offset:3216
	ds_read_b128 v[8:11], v88 offset:27792
	ds_write_b128 v88, v[16:19] offset:25632
	s_waitcnt vmcnt(0) lgkmcnt(1)
	v_mul_f64 v[16:17], v[10:11], v[14:15]
	v_mul_f64 v[18:19], v[8:9], v[14:15]
	v_fma_f64 v[16:17], v[8:9], v[12:13], -v[16:17]
	v_fmac_f64_e32 v[18:19], v[10:11], v[12:13]
	ds_write_b128 v88, v[16:19] offset:27792
.LBB0_9:
	s_or_b64 exec, exec, s[2:3]
	s_waitcnt lgkmcnt(0)
	s_barrier
	ds_read_b128 v[48:51], v88
	ds_read_b128 v[56:59], v88 offset:2160
	ds_read_b128 v[44:47], v88 offset:4320
	;; [unrolled: 1-line block ×12, first 2 shown]
	s_and_saveexec_b64 s[0:1], vcc
	s_cbranch_execz .LBB0_11
; %bb.10:
	ds_read_b128 v[0:3], v88 offset:1872
	ds_read_b128 v[4:7], v88 offset:4032
	;; [unrolled: 1-line block ×13, first 2 shown]
.LBB0_11:
	s_or_b64 exec, exec, s[0:1]
	s_waitcnt lgkmcnt(11)
	v_add_f64 v[40:41], v[48:49], v[56:57]
	v_add_f64 v[42:43], v[50:51], v[58:59]
	s_waitcnt lgkmcnt(10)
	v_add_f64 v[40:41], v[40:41], v[44:45]
	v_add_f64 v[42:43], v[42:43], v[46:47]
	;; [unrolled: 3-line block ×9, first 2 shown]
	s_waitcnt lgkmcnt(2)
	v_add_f64 v[40:41], v[40:41], v[36:37]
	s_mov_b32 s4, 0x4267c47c
	s_mov_b32 s14, 0x42a4c3d2
	;; [unrolled: 1-line block ×5, first 2 shown]
	v_add_f64 v[42:43], v[42:43], v[38:39]
	s_waitcnt lgkmcnt(1)
	v_add_f64 v[40:41], v[40:41], v[52:53]
	s_waitcnt lgkmcnt(0)
	v_add_f64 v[68:69], v[58:59], v[62:63]
	v_add_f64 v[58:59], v[58:59], -v[62:63]
	s_mov_b32 s5, 0xbfddbe06
	s_mov_b32 s0, 0xe00740e9
	;; [unrolled: 1-line block ×10, first 2 shown]
	v_add_f64 v[42:43], v[42:43], v[54:55]
	v_add_f64 v[40:41], v[40:41], v[60:61]
	;; [unrolled: 1-line block ×3, first 2 shown]
	v_add_f64 v[56:57], v[56:57], -v[60:61]
	v_mul_f64 v[60:61], v[58:59], s[4:5]
	s_mov_b32 s1, 0x3fec55a7
	v_mul_f64 v[74:75], v[58:59], s[14:15]
	s_mov_b32 s3, 0x3fe22d96
	;; [unrolled: 2-line block ×4, first 2 shown]
	v_mul_f64 v[86:87], v[58:59], s[28:29]
	v_mul_f64 v[58:59], v[58:59], s[30:31]
	s_mov_b32 s27, 0xbfef11f4
	v_add_f64 v[42:43], v[42:43], v[62:63]
	v_fma_f64 v[62:63], s[0:1], v[66:67], v[60:61]
	v_fma_f64 v[60:61], v[66:67], s[0:1], -v[60:61]
	v_fma_f64 v[76:77], s[2:3], v[66:67], v[74:75]
	v_fma_f64 v[74:75], v[66:67], s[2:3], -v[74:75]
	;; [unrolled: 2-line block ×6, first 2 shown]
	v_add_f64 v[62:63], v[48:49], v[62:63]
	v_mul_f64 v[70:71], v[68:69], s[0:1]
	s_mov_b32 s25, 0x3fddbe06
	s_mov_b32 s24, s4
	v_add_f64 v[60:61], v[48:49], v[60:61]
	v_add_f64 v[76:77], v[48:49], v[76:77]
	v_mul_f64 v[78:79], v[68:69], s[2:3]
	s_mov_b32 s41, 0x3fea55e2
	s_mov_b32 s40, s14
	v_add_f64 v[74:75], v[48:49], v[74:75]
	v_add_f64 v[84:85], v[48:49], v[84:85]
	v_mul_f64 v[92:93], v[68:69], s[12:13]
	s_mov_b32 s34, s18
	v_add_f64 v[82:83], v[48:49], v[82:83]
	v_add_f64 v[98:99], v[48:49], v[98:99]
	v_mul_f64 v[100:101], v[68:69], s[16:17]
	s_mov_b32 s39, 0x3fedeba7
	s_mov_b32 s38, s22
	v_add_f64 v[96:97], v[48:49], v[96:97]
	v_add_f64 v[104:105], v[48:49], v[104:105]
	v_mul_f64 v[106:107], v[68:69], s[20:21]
	s_mov_b32 s37, 0x3fe5384d
	;; [unrolled: 5-line block ×3, first 2 shown]
	s_mov_b32 s42, s30
	v_add_f64 v[48:49], v[48:49], v[58:59]
	v_add_f64 v[58:59], v[46:47], v[54:55]
	v_add_f64 v[46:47], v[46:47], -v[54:55]
	v_fma_f64 v[72:73], s[24:25], v[56:57], v[70:71]
	v_fmac_f64_e32 v[70:71], s[4:5], v[56:57]
	v_fma_f64 v[80:81], s[40:41], v[56:57], v[78:79]
	v_fmac_f64_e32 v[78:79], s[14:15], v[56:57]
	;; [unrolled: 2-line block ×6, first 2 shown]
	v_add_f64 v[56:57], v[44:45], v[52:53]
	v_add_f64 v[44:45], v[44:45], -v[52:53]
	v_mul_f64 v[52:53], v[46:47], s[14:15]
	v_fma_f64 v[54:55], s[2:3], v[56:57], v[52:53]
	v_add_f64 v[54:55], v[54:55], v[62:63]
	v_mul_f64 v[62:63], v[58:59], s[2:3]
	v_add_f64 v[70:71], v[50:51], v[70:71]
	v_fma_f64 v[66:67], s[40:41], v[44:45], v[62:63]
	v_fma_f64 v[52:53], v[56:57], s[2:3], -v[52:53]
	v_fmac_f64_e32 v[62:63], s[14:15], v[44:45]
	v_add_f64 v[52:53], v[52:53], v[60:61]
	v_add_f64 v[60:61], v[62:63], v[70:71]
	v_mul_f64 v[62:63], v[46:47], s[22:23]
	v_add_f64 v[72:73], v[50:51], v[72:73]
	v_add_f64 v[80:81], v[50:51], v[80:81]
	;; [unrolled: 1-line block ×11, first 2 shown]
	v_fma_f64 v[68:69], s[16:17], v[56:57], v[62:63]
	v_mul_f64 v[70:71], v[58:59], s[16:17]
	v_fma_f64 v[62:63], v[56:57], s[16:17], -v[62:63]
	v_add_f64 v[66:67], v[66:67], v[72:73]
	v_fma_f64 v[72:73], s[38:39], v[44:45], v[70:71]
	v_add_f64 v[62:63], v[62:63], v[74:75]
	v_fmac_f64_e32 v[70:71], s[22:23], v[44:45]
	v_mul_f64 v[74:75], v[46:47], s[30:31]
	v_add_f64 v[68:69], v[68:69], v[76:77]
	v_add_f64 v[70:71], v[70:71], v[78:79]
	v_fma_f64 v[76:77], s[26:27], v[56:57], v[74:75]
	v_mul_f64 v[78:79], v[58:59], s[26:27]
	v_fma_f64 v[74:75], v[56:57], s[26:27], -v[74:75]
	v_add_f64 v[72:73], v[72:73], v[80:81]
	v_fma_f64 v[80:81], s[42:43], v[44:45], v[78:79]
	v_add_f64 v[74:75], v[74:75], v[82:83]
	v_fmac_f64_e32 v[78:79], s[30:31], v[44:45]
	v_mul_f64 v[82:83], v[46:47], s[36:37]
	v_add_f64 v[76:77], v[76:77], v[84:85]
	v_add_f64 v[78:79], v[78:79], v[92:93]
	;; [unrolled: 10-line block ×3, first 2 shown]
	v_fma_f64 v[98:99], s[12:13], v[56:57], v[96:97]
	v_mul_f64 v[100:101], v[58:59], s[12:13]
	v_mul_f64 v[58:59], v[58:59], s[0:1]
	v_add_f64 v[94:95], v[94:95], v[102:103]
	v_add_f64 v[98:99], v[98:99], v[104:105]
	v_fma_f64 v[102:103], s[18:19], v[44:45], v[100:101]
	v_fma_f64 v[96:97], v[56:57], s[12:13], -v[96:97]
	v_fmac_f64_e32 v[100:101], s[34:35], v[44:45]
	v_mul_f64 v[46:47], v[46:47], s[24:25]
	v_fma_f64 v[104:105], s[4:5], v[44:45], v[58:59]
	v_fmac_f64_e32 v[58:59], s[24:25], v[44:45]
	v_add_f64 v[86:87], v[96:97], v[86:87]
	v_add_f64 v[96:97], v[100:101], v[106:107]
	v_fma_f64 v[100:101], s[0:1], v[56:57], v[46:47]
	v_fma_f64 v[46:47], v[56:57], s[0:1], -v[46:47]
	v_add_f64 v[44:45], v[58:59], v[50:51]
	v_add_f64 v[50:51], v[34:35], v[38:39]
	v_add_f64 v[34:35], v[34:35], -v[38:39]
	v_add_f64 v[46:47], v[46:47], v[48:49]
	v_add_f64 v[48:49], v[32:33], v[36:37]
	v_add_f64 v[32:33], v[32:33], -v[36:37]
	v_mul_f64 v[36:37], v[34:35], s[18:19]
	v_fma_f64 v[38:39], s[12:13], v[48:49], v[36:37]
	v_add_f64 v[38:39], v[38:39], v[54:55]
	v_mul_f64 v[54:55], v[50:51], s[12:13]
	v_fma_f64 v[56:57], s[34:35], v[32:33], v[54:55]
	v_fma_f64 v[36:37], v[48:49], s[12:13], -v[36:37]
	v_fmac_f64_e32 v[54:55], s[18:19], v[32:33]
	v_add_f64 v[36:37], v[36:37], v[52:53]
	v_add_f64 v[52:53], v[54:55], v[60:61]
	v_mul_f64 v[54:55], v[34:35], s[30:31]
	v_mul_f64 v[60:61], v[50:51], s[26:27]
	v_add_f64 v[56:57], v[56:57], v[66:67]
	v_fma_f64 v[58:59], s[26:27], v[48:49], v[54:55]
	v_fma_f64 v[66:67], s[42:43], v[32:33], v[60:61]
	v_fma_f64 v[54:55], v[48:49], s[26:27], -v[54:55]
	v_fmac_f64_e32 v[60:61], s[30:31], v[32:33]
	v_add_f64 v[54:55], v[54:55], v[62:63]
	v_add_f64 v[60:61], v[60:61], v[70:71]
	v_mul_f64 v[62:63], v[34:35], s[38:39]
	v_mul_f64 v[70:71], v[50:51], s[16:17]
	v_add_f64 v[58:59], v[58:59], v[68:69]
	v_add_f64 v[66:67], v[66:67], v[72:73]
	v_fma_f64 v[68:69], s[16:17], v[48:49], v[62:63]
	v_fma_f64 v[72:73], s[22:23], v[32:33], v[70:71]
	v_fma_f64 v[62:63], v[48:49], s[16:17], -v[62:63]
	v_fmac_f64_e32 v[70:71], s[38:39], v[32:33]
	v_add_f64 v[62:63], v[62:63], v[74:75]
	v_add_f64 v[70:71], v[70:71], v[78:79]
	v_mul_f64 v[74:75], v[34:35], s[24:25]
	v_mul_f64 v[78:79], v[50:51], s[0:1]
	v_add_f64 v[68:69], v[68:69], v[76:77]
	;; [unrolled: 10-line block ×3, first 2 shown]
	v_add_f64 v[80:81], v[80:81], v[94:95]
	v_fma_f64 v[84:85], s[2:3], v[48:49], v[82:83]
	v_fma_f64 v[94:95], s[40:41], v[32:33], v[92:93]
	v_fma_f64 v[82:83], v[48:49], s[2:3], -v[82:83]
	v_fmac_f64_e32 v[92:93], s[14:15], v[32:33]
	v_mul_f64 v[34:35], v[34:35], s[28:29]
	v_add_f64 v[82:83], v[82:83], v[86:87]
	v_add_f64 v[86:87], v[92:93], v[96:97]
	v_fma_f64 v[92:93], s[20:21], v[48:49], v[34:35]
	v_mul_f64 v[50:51], v[50:51], s[20:21]
	v_fma_f64 v[34:35], v[48:49], s[20:21], -v[34:35]
	v_fma_f64 v[96:97], s[36:37], v[32:33], v[50:51]
	v_add_f64 v[34:35], v[34:35], v[46:47]
	v_fmac_f64_e32 v[50:51], s[28:29], v[32:33]
	v_add_f64 v[46:47], v[26:27], v[30:31]
	v_add_f64 v[26:27], v[26:27], -v[30:31]
	v_add_f64 v[32:33], v[50:51], v[44:45]
	v_add_f64 v[44:45], v[24:25], v[28:29]
	v_add_f64 v[24:25], v[24:25], -v[28:29]
	v_mul_f64 v[28:29], v[26:27], s[22:23]
	v_fma_f64 v[30:31], s[16:17], v[44:45], v[28:29]
	v_add_f64 v[30:31], v[30:31], v[38:39]
	v_mul_f64 v[38:39], v[46:47], s[16:17]
	v_fma_f64 v[48:49], s[38:39], v[24:25], v[38:39]
	v_fma_f64 v[28:29], v[44:45], s[16:17], -v[28:29]
	v_fmac_f64_e32 v[38:39], s[22:23], v[24:25]
	v_add_f64 v[28:29], v[28:29], v[36:37]
	v_add_f64 v[36:37], v[38:39], v[52:53]
	v_mul_f64 v[38:39], v[26:27], s[36:37]
	v_fma_f64 v[50:51], s[20:21], v[44:45], v[38:39]
	v_fma_f64 v[38:39], v[44:45], s[20:21], -v[38:39]
	v_mul_f64 v[52:53], v[46:47], s[20:21]
	v_add_f64 v[38:39], v[38:39], v[54:55]
	v_mul_f64 v[54:55], v[26:27], s[24:25]
	v_add_f64 v[48:49], v[48:49], v[56:57]
	v_add_f64 v[50:51], v[50:51], v[58:59]
	v_fma_f64 v[56:57], s[28:29], v[24:25], v[52:53]
	v_fmac_f64_e32 v[52:53], s[36:37], v[24:25]
	v_fma_f64 v[58:59], s[0:1], v[44:45], v[54:55]
	v_fma_f64 v[54:55], v[44:45], s[0:1], -v[54:55]
	v_add_f64 v[52:53], v[52:53], v[60:61]
	v_mul_f64 v[60:61], v[46:47], s[0:1]
	v_add_f64 v[54:55], v[54:55], v[62:63]
	v_mul_f64 v[62:63], v[26:27], s[18:19]
	v_add_f64 v[56:57], v[56:57], v[66:67]
	v_add_f64 v[58:59], v[58:59], v[68:69]
	v_fma_f64 v[66:67], s[4:5], v[24:25], v[60:61]
	v_fmac_f64_e32 v[60:61], s[24:25], v[24:25]
	v_fma_f64 v[68:69], s[12:13], v[44:45], v[62:63]
	v_fma_f64 v[62:63], v[44:45], s[12:13], -v[62:63]
	v_add_f64 v[60:61], v[60:61], v[70:71]
	v_mul_f64 v[70:71], v[46:47], s[12:13]
	v_add_f64 v[62:63], v[62:63], v[74:75]
	v_mul_f64 v[74:75], v[26:27], s[42:43]
	v_add_f64 v[66:67], v[66:67], v[72:73]
	v_add_f64 v[68:69], v[68:69], v[76:77]
	v_fma_f64 v[72:73], s[34:35], v[24:25], v[70:71]
	v_fmac_f64_e32 v[70:71], s[18:19], v[24:25]
	v_fma_f64 v[76:77], s[26:27], v[44:45], v[74:75]
	v_fma_f64 v[74:75], v[44:45], s[26:27], -v[74:75]
	v_mul_f64 v[26:27], v[26:27], s[40:41]
	v_add_f64 v[84:85], v[84:85], v[98:99]
	v_add_f64 v[70:71], v[70:71], v[78:79]
	v_mul_f64 v[78:79], v[46:47], s[26:27]
	v_add_f64 v[74:75], v[74:75], v[82:83]
	v_fma_f64 v[82:83], s[2:3], v[44:45], v[26:27]
	v_mul_f64 v[46:47], v[46:47], s[2:3]
	v_fma_f64 v[26:27], v[44:45], s[2:3], -v[26:27]
	v_add_f64 v[76:77], v[76:77], v[84:85]
	v_fma_f64 v[84:85], s[14:15], v[24:25], v[46:47]
	v_add_f64 v[26:27], v[26:27], v[34:35]
	v_fmac_f64_e32 v[46:47], s[40:41], v[24:25]
	v_add_f64 v[34:35], v[18:19], v[22:23]
	v_add_f64 v[18:19], v[18:19], -v[22:23]
	v_add_f64 v[72:73], v[72:73], v[80:81]
	v_fma_f64 v[80:81], s[30:31], v[24:25], v[78:79]
	v_fmac_f64_e32 v[78:79], s[42:43], v[24:25]
	v_add_f64 v[24:25], v[46:47], v[32:33]
	v_add_f64 v[32:33], v[16:17], v[20:21]
	v_add_f64 v[16:17], v[16:17], -v[20:21]
	v_mul_f64 v[20:21], v[18:19], s[28:29]
	v_fma_f64 v[22:23], s[20:21], v[32:33], v[20:21]
	v_add_f64 v[22:23], v[22:23], v[30:31]
	v_mul_f64 v[30:31], v[34:35], s[20:21]
	v_fma_f64 v[44:45], s[36:37], v[16:17], v[30:31]
	v_fma_f64 v[20:21], v[32:33], s[20:21], -v[20:21]
	v_fmac_f64_e32 v[30:31], s[28:29], v[16:17]
	v_add_f64 v[20:21], v[20:21], v[28:29]
	v_add_f64 v[28:29], v[30:31], v[36:37]
	v_mul_f64 v[30:31], v[18:19], s[34:35]
	v_mul_f64 v[46:47], v[34:35], s[12:13]
	v_add_f64 v[44:45], v[44:45], v[48:49]
	v_fma_f64 v[36:37], s[12:13], v[32:33], v[30:31]
	v_fma_f64 v[48:49], s[18:19], v[16:17], v[46:47]
	v_fma_f64 v[30:31], v[32:33], s[12:13], -v[30:31]
	v_fmac_f64_e32 v[46:47], s[34:35], v[16:17]
	v_add_f64 v[30:31], v[30:31], v[38:39]
	v_add_f64 v[38:39], v[46:47], v[52:53]
	v_mul_f64 v[46:47], v[18:19], s[14:15]
	v_add_f64 v[36:37], v[36:37], v[50:51]
	v_fma_f64 v[50:51], s[2:3], v[32:33], v[46:47]
	v_fma_f64 v[46:47], v[32:33], s[2:3], -v[46:47]
	v_mul_f64 v[52:53], v[34:35], s[2:3]
	v_add_f64 v[46:47], v[46:47], v[54:55]
	v_mul_f64 v[54:55], v[18:19], s[42:43]
	v_add_f64 v[48:49], v[48:49], v[56:57]
	v_add_f64 v[50:51], v[50:51], v[58:59]
	v_fma_f64 v[56:57], s[40:41], v[16:17], v[52:53]
	v_fmac_f64_e32 v[52:53], s[14:15], v[16:17]
	v_fma_f64 v[58:59], s[26:27], v[32:33], v[54:55]
	v_fma_f64 v[54:55], v[32:33], s[26:27], -v[54:55]
	v_add_f64 v[100:101], v[100:101], v[110:111]
	v_add_f64 v[52:53], v[52:53], v[60:61]
	v_mul_f64 v[60:61], v[34:35], s[26:27]
	v_add_f64 v[54:55], v[54:55], v[62:63]
	v_mul_f64 v[62:63], v[18:19], s[24:25]
	v_add_f64 v[104:105], v[104:105], v[112:113]
	v_add_f64 v[92:93], v[92:93], v[100:101]
	v_add_f64 v[56:57], v[56:57], v[66:67]
	v_add_f64 v[58:59], v[58:59], v[68:69]
	v_fma_f64 v[66:67], s[30:31], v[16:17], v[60:61]
	v_fmac_f64_e32 v[60:61], s[42:43], v[16:17]
	v_fma_f64 v[68:69], s[0:1], v[32:33], v[62:63]
	v_fma_f64 v[62:63], v[32:33], s[0:1], -v[62:63]
	v_mul_f64 v[18:19], v[18:19], s[22:23]
	v_add_f64 v[96:97], v[96:97], v[104:105]
	v_add_f64 v[82:83], v[82:83], v[92:93]
	;; [unrolled: 1-line block ×3, first 2 shown]
	v_mul_f64 v[70:71], v[34:35], s[0:1]
	v_add_f64 v[62:63], v[62:63], v[74:75]
	v_fma_f64 v[74:75], s[16:17], v[32:33], v[18:19]
	v_mul_f64 v[34:35], v[34:35], s[16:17]
	v_add_f64 v[92:93], v[10:11], -v[14:15]
	v_add_f64 v[78:79], v[78:79], v[86:87]
	v_add_f64 v[84:85], v[84:85], v[96:97]
	;; [unrolled: 1-line block ×4, first 2 shown]
	v_fma_f64 v[76:77], s[38:39], v[16:17], v[34:35]
	v_add_f64 v[82:83], v[8:9], v[12:13]
	v_add_f64 v[86:87], v[8:9], -v[12:13]
	v_mul_f64 v[12:13], v[92:93], s[30:31]
	v_add_f64 v[76:77], v[76:77], v[84:85]
	v_add_f64 v[84:85], v[10:11], v[14:15]
	v_fma_f64 v[8:9], s[26:27], v[82:83], v[12:13]
	v_fma_f64 v[12:13], v[82:83], s[26:27], -v[12:13]
	v_add_f64 v[102:103], v[102:103], v[108:109]
	v_mul_f64 v[14:15], v[84:85], s[26:27]
	v_add_f64 v[12:13], v[12:13], v[20:21]
	v_mul_f64 v[20:21], v[92:93], s[24:25]
	v_add_f64 v[94:95], v[94:95], v[102:103]
	v_add_f64 v[66:67], v[66:67], v[72:73]
	v_fma_f64 v[72:73], s[4:5], v[16:17], v[70:71]
	v_fmac_f64_e32 v[70:71], s[24:25], v[16:17]
	v_fmac_f64_e32 v[34:35], s[22:23], v[16:17]
	v_fma_f64 v[10:11], s[42:43], v[86:87], v[14:15]
	v_fmac_f64_e32 v[14:15], s[30:31], v[86:87]
	v_fma_f64 v[16:17], s[0:1], v[82:83], v[20:21]
	v_fma_f64 v[20:21], v[82:83], s[0:1], -v[20:21]
	v_add_f64 v[80:81], v[80:81], v[94:95]
	v_fma_f64 v[18:19], v[32:33], s[16:17], -v[18:19]
	v_add_f64 v[8:9], v[8:9], v[22:23]
	v_add_f64 v[14:15], v[14:15], v[28:29]
	;; [unrolled: 1-line block ×3, first 2 shown]
	v_mul_f64 v[22:23], v[84:85], s[0:1]
	v_add_f64 v[20:21], v[20:21], v[30:31]
	v_mul_f64 v[28:29], v[92:93], s[28:29]
	v_mul_f64 v[30:31], v[84:85], s[20:21]
	;; [unrolled: 1-line block ×3, first 2 shown]
	v_add_f64 v[72:73], v[72:73], v[80:81]
	v_add_f64 v[70:71], v[70:71], v[78:79]
	;; [unrolled: 1-line block ×4, first 2 shown]
	v_fma_f64 v[18:19], s[4:5], v[86:87], v[22:23]
	v_fmac_f64_e32 v[22:23], s[24:25], v[86:87]
	v_fma_f64 v[24:25], s[20:21], v[82:83], v[28:29]
	v_fma_f64 v[26:27], s[36:37], v[86:87], v[30:31]
	;; [unrolled: 1-line block ×3, first 2 shown]
	v_add_f64 v[18:19], v[18:19], v[48:49]
	v_add_f64 v[22:23], v[22:23], v[38:39]
	;; [unrolled: 1-line block ×4, first 2 shown]
	v_fma_f64 v[28:29], v[82:83], s[20:21], -v[28:29]
	v_fmac_f64_e32 v[30:31], s[28:29], v[86:87]
	v_add_f64 v[32:33], v[32:33], v[58:59]
	v_mul_f64 v[38:39], v[84:85], s[2:3]
	v_fma_f64 v[36:37], v[82:83], s[2:3], -v[36:37]
	v_mul_f64 v[48:49], v[92:93], s[22:23]
	v_mul_f64 v[50:51], v[84:85], s[16:17]
	;; [unrolled: 1-line block ×4, first 2 shown]
	v_add_f64 v[10:11], v[10:11], v[44:45]
	v_add_f64 v[28:29], v[28:29], v[46:47]
	;; [unrolled: 1-line block ×3, first 2 shown]
	v_fma_f64 v[34:35], s[14:15], v[86:87], v[38:39]
	v_add_f64 v[36:37], v[36:37], v[54:55]
	v_fmac_f64_e32 v[38:39], s[40:41], v[86:87]
	v_fma_f64 v[44:45], s[16:17], v[82:83], v[48:49]
	v_fma_f64 v[46:47], s[38:39], v[86:87], v[50:51]
	v_fma_f64 v[48:49], v[82:83], s[16:17], -v[48:49]
	v_fmac_f64_e32 v[50:51], s[22:23], v[86:87]
	v_fma_f64 v[52:53], s[12:13], v[82:83], v[56:57]
	v_fma_f64 v[54:55], s[18:19], v[86:87], v[58:59]
	v_fma_f64 v[56:57], v[82:83], s[12:13], -v[56:57]
	v_fmac_f64_e32 v[58:59], s[34:35], v[86:87]
	v_add_f64 v[34:35], v[34:35], v[66:67]
	v_add_f64 v[38:39], v[38:39], v[60:61]
	;; [unrolled: 1-line block ×10, first 2 shown]
	s_barrier
	ds_write_b128 v91, v[40:43]
	ds_write_b128 v91, v[8:11] offset:16
	ds_write_b128 v91, v[16:19] offset:32
	;; [unrolled: 1-line block ×12, first 2 shown]
	s_and_saveexec_b64 s[44:45], vcc
	s_cbranch_execz .LBB0_13
; %bb.12:
	v_accvgpr_write_b32 a98, v146
	v_accvgpr_write_b32 a99, v147
	;; [unrolled: 1-line block ×4, first 2 shown]
	v_accvgpr_read_b32 v149, a73
	v_accvgpr_write_b32 a102, v168
	v_accvgpr_read_b32 v148, a72
	v_accvgpr_write_b32 a103, v169
	v_accvgpr_write_b32 a104, v170
	;; [unrolled: 1-line block ×5, first 2 shown]
	v_pk_mov_b32 v[172:173], v[166:167], v[166:167] op_sel:[0,1]
	v_add_f64 v[36:37], v[148:149], v[166:167]
	v_pk_mov_b32 v[170:171], v[164:165], v[164:165] op_sel:[0,1]
	v_accvgpr_read_b32 v169, a93
	v_accvgpr_read_b32 v168, a92
	;; [unrolled: 1-line block ×4, first 2 shown]
	v_accvgpr_write_b32 a90, v158
	v_accvgpr_write_b32 a91, v159
	;; [unrolled: 1-line block ×4, first 2 shown]
	v_accvgpr_read_b32 v161, a85
	v_accvgpr_read_b32 v160, a84
	;; [unrolled: 1-line block ×4, first 2 shown]
	v_accvgpr_write_b32 a82, v154
	v_accvgpr_write_b32 a94, v142
	;; [unrolled: 1-line block ×5, first 2 shown]
	v_accvgpr_read_b32 v157, a81
	v_accvgpr_read_b32 v147, a71
	;; [unrolled: 1-line block ×3, first 2 shown]
	v_accvgpr_write_b32 a95, v143
	v_accvgpr_write_b32 a96, v144
	;; [unrolled: 1-line block ×3, first 2 shown]
	v_accvgpr_read_b32 v145, a69
	v_accvgpr_read_b32 v156, a80
	v_accvgpr_read_b32 v155, a79
	v_accvgpr_read_b32 v154, a78
	v_accvgpr_write_b32 a78, v150
	v_add_f64 v[60:61], v[146:147], -v[164:165]
	v_accvgpr_read_b32 v144, a68
	v_accvgpr_read_b32 v143, a67
	;; [unrolled: 1-line block ×3, first 2 shown]
	v_accvgpr_write_b32 a144, v162
	v_accvgpr_write_b32 a145, v163
	v_accvgpr_read_b32 v165, a89
	v_accvgpr_write_b32 a66, v130
	v_accvgpr_write_b32 a79, v151
	;; [unrolled: 1-line block ×4, first 2 shown]
	v_accvgpr_read_b32 v153, a77
	v_accvgpr_read_b32 v164, a88
	;; [unrolled: 1-line block ×4, first 2 shown]
	v_accvgpr_write_b32 a86, v134
	v_accvgpr_write_b32 a67, v131
	;; [unrolled: 1-line block ×4, first 2 shown]
	v_accvgpr_read_b32 v133, a57
	v_accvgpr_read_b32 v151, a75
	v_accvgpr_read_b32 v150, a74
	v_accvgpr_write_b32 a87, v135
	v_accvgpr_write_b32 a88, v136
	;; [unrolled: 1-line block ×3, first 2 shown]
	v_accvgpr_read_b32 v137, a61
	v_accvgpr_read_b32 v131, a55
	;; [unrolled: 1-line block ×4, first 2 shown]
	v_add_f64 v[72:73], v[4:5], -v[150:151]
	v_accvgpr_write_b32 a148, v174
	v_mov_b32_e32 v174, v140
	v_accvgpr_write_b32 a73, v138
	v_accvgpr_write_b32 a142, v139
	;; [unrolled: 1-line block ×3, first 2 shown]
	v_accvgpr_read_b32 v141, a65
	v_accvgpr_read_b32 v135, a59
	;; [unrolled: 1-line block ×4, first 2 shown]
	v_add_f64 v[70:71], v[130:131], -v[154:155]
	v_mul_f64 v[28:29], v[72:73], s[30:31]
	v_add_f64 v[46:47], v[6:7], v[152:153]
	v_add_f64 v[84:85], v[6:7], -v[152:153]
	v_accvgpr_read_b32 v139, a63
	v_accvgpr_read_b32 v138, a62
	;; [unrolled: 1-line block ×3, first 2 shown]
	v_add_f64 v[68:69], v[134:135], -v[158:159]
	v_mul_f64 v[24:25], v[70:71], s[24:25]
	v_add_f64 v[44:45], v[132:133], v[156:157]
	v_fma_f64 v[30:31], s[26:27], v[46:47], v[28:29]
	v_add_f64 v[82:83], v[132:133], -v[156:157]
	v_add_f64 v[58:59], v[4:5], v[150:151]
	v_mul_f64 v[94:95], v[84:85], s[30:31]
	v_accvgpr_read_b32 v140, a64
	v_add_f64 v[66:67], v[138:139], -v[162:163]
	v_mul_f64 v[20:21], v[68:69], s[28:29]
	v_add_f64 v[42:43], v[136:137], v[160:161]
	v_fma_f64 v[26:27], s[0:1], v[44:45], v[24:25]
	v_add_f64 v[30:31], v[2:3], v[30:31]
	v_add_f64 v[80:81], v[136:137], -v[160:161]
	v_add_f64 v[56:57], v[130:131], v[154:155]
	v_mul_f64 v[90:91], v[82:83], s[24:25]
	v_fma_f64 v[96:97], v[58:59], s[26:27], -v[94:95]
	v_add_f64 v[62:63], v[142:143], -v[166:167]
	v_mul_f64 v[16:17], v[66:67], s[40:41]
	v_add_f64 v[40:41], v[140:141], v[164:165]
	v_fma_f64 v[22:23], s[20:21], v[42:43], v[20:21]
	v_add_f64 v[26:27], v[26:27], v[30:31]
	v_add_f64 v[78:79], v[140:141], -v[164:165]
	v_add_f64 v[54:55], v[134:135], v[158:159]
	v_mul_f64 v[34:35], v[80:81], s[28:29]
	v_fma_f64 v[92:93], v[56:57], s[0:1], -v[90:91]
	v_add_f64 v[96:97], v[0:1], v[96:97]
	v_mul_f64 v[14:15], v[62:63], s[22:23]
	v_add_f64 v[38:39], v[144:145], v[168:169]
	v_fma_f64 v[18:19], s[2:3], v[40:41], v[16:17]
	v_add_f64 v[22:23], v[22:23], v[26:27]
	v_add_f64 v[76:77], v[144:145], -v[168:169]
	v_add_f64 v[52:53], v[138:139], v[162:163]
	v_mul_f64 v[30:31], v[78:79], s[40:41]
	v_fma_f64 v[86:87], v[54:55], s[20:21], -v[34:35]
	v_add_f64 v[92:93], v[92:93], v[96:97]
	v_mul_f64 v[12:13], v[60:61], s[34:35]
	v_fma_f64 v[10:11], s[16:17], v[38:39], v[14:15]
	v_add_f64 v[18:19], v[18:19], v[22:23]
	v_add_f64 v[74:75], v[148:149], -v[172:173]
	v_add_f64 v[50:51], v[142:143], v[166:167]
	v_mul_f64 v[22:23], v[76:77], s[22:23]
	v_fma_f64 v[32:33], v[52:53], s[2:3], -v[30:31]
	v_add_f64 v[86:87], v[86:87], v[92:93]
	v_fma_f64 v[8:9], s[12:13], v[36:37], v[12:13]
	v_add_f64 v[10:11], v[10:11], v[18:19]
	v_add_f64 v[48:49], v[146:147], v[170:171]
	v_mul_f64 v[18:19], v[74:75], s[34:35]
	v_fma_f64 v[26:27], v[50:51], s[16:17], -v[22:23]
	v_add_f64 v[32:33], v[32:33], v[86:87]
	v_add_f64 v[10:11], v[8:9], v[10:11]
	v_fma_f64 v[8:9], v[48:49], s[12:13], -v[18:19]
	v_add_f64 v[26:27], v[26:27], v[32:33]
	v_add_f64 v[8:9], v[8:9], v[26:27]
	v_fma_f64 v[26:27], v[46:47], s[26:27], -v[28:29]
	v_fma_f64 v[24:25], v[44:45], s[0:1], -v[24:25]
	v_add_f64 v[26:27], v[2:3], v[26:27]
	v_fma_f64 v[20:21], v[42:43], s[20:21], -v[20:21]
	v_add_f64 v[24:25], v[24:25], v[26:27]
	;; [unrolled: 2-line block ×5, first 2 shown]
	v_fmac_f64_e32 v[94:95], s[26:27], v[58:59]
	v_add_f64 v[14:15], v[12:13], v[14:15]
	v_fmac_f64_e32 v[90:91], s[0:1], v[56:57]
	v_add_f64 v[12:13], v[0:1], v[94:95]
	v_mul_f64 v[86:87], v[72:73], s[28:29]
	v_fmac_f64_e32 v[34:35], s[20:21], v[54:55]
	v_add_f64 v[12:13], v[90:91], v[12:13]
	v_mul_f64 v[32:33], v[70:71], s[34:35]
	v_fma_f64 v[90:91], s[20:21], v[46:47], v[86:87]
	v_mul_f64 v[102:103], v[84:85], s[28:29]
	v_fmac_f64_e32 v[30:31], s[2:3], v[52:53]
	v_add_f64 v[12:13], v[34:35], v[12:13]
	v_mul_f64 v[28:29], v[68:69], s[14:15]
	v_fma_f64 v[34:35], s[12:13], v[44:45], v[32:33]
	v_add_f64 v[90:91], v[2:3], v[90:91]
	v_mul_f64 v[98:99], v[82:83], s[34:35]
	v_fma_f64 v[104:105], v[58:59], s[20:21], -v[102:103]
	v_fmac_f64_e32 v[22:23], s[16:17], v[50:51]
	v_add_f64 v[12:13], v[30:31], v[12:13]
	v_mul_f64 v[24:25], v[66:67], s[42:43]
	v_fma_f64 v[30:31], s[2:3], v[42:43], v[28:29]
	v_add_f64 v[34:35], v[34:35], v[90:91]
	v_mul_f64 v[94:95], v[80:81], s[14:15]
	v_fma_f64 v[100:101], v[56:57], s[12:13], -v[98:99]
	v_add_f64 v[104:105], v[0:1], v[104:105]
	v_fmac_f64_e32 v[18:19], s[12:13], v[48:49]
	v_add_f64 v[12:13], v[22:23], v[12:13]
	v_mul_f64 v[22:23], v[62:63], s[24:25]
	v_fma_f64 v[26:27], s[26:27], v[40:41], v[24:25]
	v_add_f64 v[30:31], v[30:31], v[34:35]
	v_mul_f64 v[90:91], v[78:79], s[42:43]
	v_fma_f64 v[96:97], v[54:55], s[2:3], -v[94:95]
	v_add_f64 v[100:101], v[100:101], v[104:105]
	v_add_f64 v[12:13], v[18:19], v[12:13]
	v_mul_f64 v[20:21], v[60:61], s[22:23]
	v_fma_f64 v[18:19], s[0:1], v[38:39], v[22:23]
	v_add_f64 v[26:27], v[26:27], v[30:31]
	v_mul_f64 v[30:31], v[76:77], s[24:25]
	v_fma_f64 v[92:93], v[52:53], s[26:27], -v[90:91]
	v_add_f64 v[96:97], v[96:97], v[100:101]
	v_fma_f64 v[16:17], s[16:17], v[36:37], v[20:21]
	v_add_f64 v[18:19], v[18:19], v[26:27]
	v_mul_f64 v[26:27], v[74:75], s[22:23]
	v_fma_f64 v[34:35], v[50:51], s[0:1], -v[30:31]
	v_add_f64 v[92:93], v[92:93], v[96:97]
	v_add_f64 v[18:19], v[16:17], v[18:19]
	v_fma_f64 v[16:17], v[48:49], s[16:17], -v[26:27]
	v_add_f64 v[34:35], v[34:35], v[92:93]
	v_add_f64 v[16:17], v[16:17], v[34:35]
	v_fma_f64 v[34:35], v[46:47], s[20:21], -v[86:87]
	v_fma_f64 v[32:33], v[44:45], s[12:13], -v[32:33]
	v_add_f64 v[34:35], v[2:3], v[34:35]
	v_fma_f64 v[28:29], v[42:43], s[2:3], -v[28:29]
	v_add_f64 v[32:33], v[32:33], v[34:35]
	v_fma_f64 v[24:25], v[40:41], s[26:27], -v[24:25]
	v_add_f64 v[28:29], v[28:29], v[32:33]
	v_fma_f64 v[22:23], v[38:39], s[0:1], -v[22:23]
	v_add_f64 v[24:25], v[24:25], v[28:29]
	v_fma_f64 v[20:21], v[36:37], s[16:17], -v[20:21]
	v_add_f64 v[22:23], v[22:23], v[24:25]
	v_fmac_f64_e32 v[102:103], s[20:21], v[58:59]
	v_add_f64 v[22:23], v[20:21], v[22:23]
	v_fmac_f64_e32 v[98:99], s[12:13], v[56:57]
	v_add_f64 v[20:21], v[0:1], v[102:103]
	v_mul_f64 v[96:97], v[72:73], s[22:23]
	v_fmac_f64_e32 v[94:95], s[2:3], v[54:55]
	v_add_f64 v[20:21], v[98:99], v[20:21]
	v_mul_f64 v[92:93], v[70:71], s[36:37]
	v_fma_f64 v[98:99], s[16:17], v[46:47], v[96:97]
	v_mul_f64 v[110:111], v[84:85], s[22:23]
	v_fmac_f64_e32 v[90:91], s[26:27], v[52:53]
	v_add_f64 v[20:21], v[94:95], v[20:21]
	v_mul_f64 v[86:87], v[68:69], s[24:25]
	v_fma_f64 v[94:95], s[20:21], v[44:45], v[92:93]
	v_add_f64 v[98:99], v[2:3], v[98:99]
	v_mul_f64 v[106:107], v[82:83], s[36:37]
	v_fma_f64 v[112:113], v[58:59], s[16:17], -v[110:111]
	v_fmac_f64_e32 v[30:31], s[0:1], v[50:51]
	v_add_f64 v[20:21], v[90:91], v[20:21]
	v_mul_f64 v[32:33], v[66:67], s[18:19]
	v_fma_f64 v[90:91], s[0:1], v[42:43], v[86:87]
	v_add_f64 v[94:95], v[94:95], v[98:99]
	v_mul_f64 v[102:103], v[80:81], s[24:25]
	v_fma_f64 v[108:109], v[56:57], s[20:21], -v[106:107]
	v_add_f64 v[112:113], v[0:1], v[112:113]
	v_fmac_f64_e32 v[26:27], s[16:17], v[48:49]
	v_add_f64 v[20:21], v[30:31], v[20:21]
	v_mul_f64 v[30:31], v[62:63], s[42:43]
	v_fma_f64 v[34:35], s[12:13], v[40:41], v[32:33]
	v_add_f64 v[90:91], v[90:91], v[94:95]
	v_mul_f64 v[98:99], v[78:79], s[18:19]
	v_fma_f64 v[104:105], v[54:55], s[0:1], -v[102:103]
	v_add_f64 v[108:109], v[108:109], v[112:113]
	v_add_f64 v[20:21], v[26:27], v[20:21]
	v_mul_f64 v[28:29], v[60:61], s[40:41]
	v_fma_f64 v[26:27], s[26:27], v[38:39], v[30:31]
	v_add_f64 v[34:35], v[34:35], v[90:91]
	v_mul_f64 v[90:91], v[76:77], s[42:43]
	v_fma_f64 v[100:101], v[52:53], s[12:13], -v[98:99]
	v_add_f64 v[104:105], v[104:105], v[108:109]
	v_fma_f64 v[24:25], s[2:3], v[36:37], v[28:29]
	v_add_f64 v[26:27], v[26:27], v[34:35]
	v_mul_f64 v[34:35], v[74:75], s[40:41]
	v_fma_f64 v[94:95], v[50:51], s[26:27], -v[90:91]
	v_add_f64 v[100:101], v[100:101], v[104:105]
	v_add_f64 v[26:27], v[24:25], v[26:27]
	v_fma_f64 v[24:25], v[48:49], s[2:3], -v[34:35]
	v_add_f64 v[94:95], v[94:95], v[100:101]
	v_add_f64 v[24:25], v[24:25], v[94:95]
	v_fma_f64 v[94:95], v[46:47], s[16:17], -v[96:97]
	v_fma_f64 v[92:93], v[44:45], s[20:21], -v[92:93]
	v_add_f64 v[94:95], v[2:3], v[94:95]
	v_fma_f64 v[86:87], v[42:43], s[0:1], -v[86:87]
	v_add_f64 v[92:93], v[92:93], v[94:95]
	v_fma_f64 v[32:33], v[40:41], s[12:13], -v[32:33]
	v_add_f64 v[86:87], v[86:87], v[92:93]
	v_fma_f64 v[30:31], v[38:39], s[26:27], -v[30:31]
	v_add_f64 v[32:33], v[32:33], v[86:87]
	v_fma_f64 v[28:29], v[36:37], s[2:3], -v[28:29]
	v_add_f64 v[30:31], v[30:31], v[32:33]
	v_fmac_f64_e32 v[110:111], s[16:17], v[58:59]
	v_add_f64 v[30:31], v[28:29], v[30:31]
	v_fmac_f64_e32 v[106:107], s[20:21], v[56:57]
	v_add_f64 v[28:29], v[0:1], v[110:111]
	v_mul_f64 v[104:105], v[72:73], s[18:19]
	v_fmac_f64_e32 v[102:103], s[0:1], v[54:55]
	v_add_f64 v[28:29], v[106:107], v[28:29]
	v_mul_f64 v[100:101], v[70:71], s[30:31]
	v_fma_f64 v[106:107], s[12:13], v[46:47], v[104:105]
	v_accvgpr_write_b32 a54, v114
	v_accvgpr_write_b32 a1, v118
	;; [unrolled: 1-line block ×3, first 2 shown]
	v_mul_f64 v[118:119], v[84:85], s[18:19]
	v_fmac_f64_e32 v[98:99], s[12:13], v[52:53]
	v_add_f64 v[28:29], v[102:103], v[28:29]
	v_mul_f64 v[96:97], v[68:69], s[38:39]
	v_fma_f64 v[102:103], s[26:27], v[44:45], v[100:101]
	v_add_f64 v[106:107], v[2:3], v[106:107]
	v_accvgpr_write_b32 a55, v115
	v_accvgpr_write_b32 a56, v116
	;; [unrolled: 1-line block ×3, first 2 shown]
	v_mul_f64 v[114:115], v[82:83], s[30:31]
	v_accvgpr_write_b32 a71, v120
	v_accvgpr_write_b32 a72, v121
	v_fma_f64 v[120:121], v[58:59], s[12:13], -v[118:119]
	v_fmac_f64_e32 v[90:91], s[26:27], v[50:51]
	v_add_f64 v[28:29], v[98:99], v[28:29]
	v_mul_f64 v[92:93], v[66:67], s[24:25]
	v_fma_f64 v[98:99], s[16:17], v[42:43], v[96:97]
	v_add_f64 v[102:103], v[102:103], v[106:107]
	v_mul_f64 v[110:111], v[80:81], s[38:39]
	v_fma_f64 v[116:117], v[56:57], s[26:27], -v[114:115]
	v_add_f64 v[120:121], v[0:1], v[120:121]
	v_fmac_f64_e32 v[34:35], s[2:3], v[48:49]
	v_add_f64 v[28:29], v[90:91], v[28:29]
	v_mul_f64 v[90:91], v[62:63], s[14:15]
	v_fma_f64 v[94:95], s[0:1], v[40:41], v[92:93]
	v_add_f64 v[98:99], v[98:99], v[102:103]
	v_mul_f64 v[106:107], v[78:79], s[24:25]
	v_fma_f64 v[112:113], v[54:55], s[16:17], -v[110:111]
	v_add_f64 v[116:117], v[116:117], v[120:121]
	v_add_f64 v[28:29], v[34:35], v[28:29]
	v_mul_f64 v[86:87], v[60:61], s[28:29]
	v_fma_f64 v[34:35], s[2:3], v[38:39], v[90:91]
	v_add_f64 v[94:95], v[94:95], v[98:99]
	v_mul_f64 v[98:99], v[76:77], s[14:15]
	v_fma_f64 v[108:109], v[52:53], s[0:1], -v[106:107]
	v_add_f64 v[112:113], v[112:113], v[116:117]
	v_fma_f64 v[32:33], s[20:21], v[36:37], v[86:87]
	v_add_f64 v[34:35], v[34:35], v[94:95]
	v_mul_f64 v[94:95], v[74:75], s[28:29]
	v_fma_f64 v[102:103], v[50:51], s[2:3], -v[98:99]
	v_add_f64 v[108:109], v[108:109], v[112:113]
	v_add_f64 v[34:35], v[32:33], v[34:35]
	v_fma_f64 v[32:33], v[48:49], s[20:21], -v[94:95]
	v_add_f64 v[102:103], v[102:103], v[108:109]
	v_add_f64 v[32:33], v[32:33], v[102:103]
	v_fma_f64 v[102:103], v[46:47], s[12:13], -v[104:105]
	v_fma_f64 v[100:101], v[44:45], s[26:27], -v[100:101]
	v_add_f64 v[102:103], v[2:3], v[102:103]
	v_fma_f64 v[96:97], v[42:43], s[16:17], -v[96:97]
	v_add_f64 v[100:101], v[100:101], v[102:103]
	;; [unrolled: 2-line block ×5, first 2 shown]
	v_fmac_f64_e32 v[118:119], s[12:13], v[58:59]
	v_add_f64 v[92:93], v[86:87], v[90:91]
	v_fmac_f64_e32 v[114:115], s[26:27], v[56:57]
	v_add_f64 v[86:87], v[0:1], v[118:119]
	v_mul_f64 v[112:113], v[72:73], s[14:15]
	v_accvgpr_write_b32 a62, v126
	v_fmac_f64_e32 v[110:111], s[16:17], v[54:55]
	v_add_f64 v[86:87], v[114:115], v[86:87]
	v_mul_f64 v[108:109], v[70:71], s[22:23]
	v_fma_f64 v[114:115], s[2:3], v[46:47], v[112:113]
	v_accvgpr_write_b32 a58, v122
	v_accvgpr_write_b32 a63, v127
	;; [unrolled: 1-line block ×4, first 2 shown]
	v_mul_f64 v[126:127], v[84:85], s[14:15]
	v_fmac_f64_e32 v[106:107], s[0:1], v[52:53]
	v_add_f64 v[86:87], v[110:111], v[86:87]
	v_mul_f64 v[104:105], v[68:69], s[30:31]
	v_fma_f64 v[110:111], s[16:17], v[44:45], v[108:109]
	v_add_f64 v[114:115], v[2:3], v[114:115]
	v_accvgpr_write_b32 a59, v123
	v_accvgpr_write_b32 a60, v124
	;; [unrolled: 1-line block ×3, first 2 shown]
	v_mul_f64 v[122:123], v[82:83], s[22:23]
	v_fma_f64 v[128:129], v[58:59], s[2:3], -v[126:127]
	v_fmac_f64_e32 v[98:99], s[2:3], v[50:51]
	v_add_f64 v[86:87], v[106:107], v[86:87]
	v_mul_f64 v[100:101], v[66:67], s[36:37]
	v_fma_f64 v[106:107], s[26:27], v[42:43], v[104:105]
	v_add_f64 v[110:111], v[110:111], v[114:115]
	v_mul_f64 v[118:119], v[80:81], s[30:31]
	v_fma_f64 v[124:125], v[56:57], s[16:17], -v[122:123]
	v_add_f64 v[128:129], v[0:1], v[128:129]
	v_fmac_f64_e32 v[94:95], s[20:21], v[48:49]
	v_add_f64 v[86:87], v[98:99], v[86:87]
	v_mul_f64 v[98:99], v[62:63], s[34:35]
	v_fma_f64 v[102:103], s[20:21], v[40:41], v[100:101]
	v_add_f64 v[106:107], v[106:107], v[110:111]
	v_mul_f64 v[114:115], v[78:79], s[36:37]
	v_fma_f64 v[120:121], v[54:55], s[26:27], -v[118:119]
	v_add_f64 v[124:125], v[124:125], v[128:129]
	v_add_f64 v[90:91], v[94:95], v[86:87]
	v_mul_f64 v[86:87], v[60:61], s[24:25]
	v_fma_f64 v[96:97], s[12:13], v[38:39], v[98:99]
	v_add_f64 v[102:103], v[102:103], v[106:107]
	v_mul_f64 v[106:107], v[76:77], s[34:35]
	v_fma_f64 v[116:117], v[52:53], s[20:21], -v[114:115]
	v_add_f64 v[120:121], v[120:121], v[124:125]
	v_fma_f64 v[94:95], s[0:1], v[36:37], v[86:87]
	v_add_f64 v[96:97], v[96:97], v[102:103]
	v_mul_f64 v[102:103], v[74:75], s[24:25]
	v_fma_f64 v[110:111], v[50:51], s[12:13], -v[106:107]
	v_add_f64 v[116:117], v[116:117], v[120:121]
	v_add_f64 v[96:97], v[94:95], v[96:97]
	v_fma_f64 v[94:95], v[48:49], s[0:1], -v[102:103]
	v_add_f64 v[110:111], v[110:111], v[116:117]
	v_add_f64 v[94:95], v[94:95], v[110:111]
	v_fma_f64 v[110:111], v[46:47], s[2:3], -v[112:113]
	v_fma_f64 v[108:109], v[44:45], s[16:17], -v[108:109]
	v_add_f64 v[110:111], v[2:3], v[110:111]
	v_fma_f64 v[104:105], v[42:43], s[26:27], -v[104:105]
	v_add_f64 v[108:109], v[108:109], v[110:111]
	v_fma_f64 v[100:101], v[40:41], s[20:21], -v[100:101]
	v_add_f64 v[104:105], v[104:105], v[108:109]
	v_fma_f64 v[98:99], v[38:39], s[12:13], -v[98:99]
	v_add_f64 v[100:101], v[100:101], v[104:105]
	v_fma_f64 v[86:87], v[36:37], s[0:1], -v[86:87]
	v_add_f64 v[98:99], v[98:99], v[100:101]
	v_fmac_f64_e32 v[126:127], s[2:3], v[58:59]
	v_add_f64 v[100:101], v[86:87], v[98:99]
	v_fmac_f64_e32 v[122:123], s[16:17], v[56:57]
	v_add_f64 v[86:87], v[0:1], v[126:127]
	;; [unrolled: 2-line block ×3, first 2 shown]
	v_mul_f64 v[72:73], v[72:73], s[4:5]
	v_fmac_f64_e32 v[114:115], s[20:21], v[52:53]
	v_add_f64 v[86:87], v[118:119], v[86:87]
	v_mul_f64 v[70:71], v[70:71], s[14:15]
	v_fma_f64 v[110:111], s[0:1], v[46:47], v[72:73]
	v_fma_f64 v[46:47], v[46:47], s[0:1], -v[72:73]
	v_fmac_f64_e32 v[106:107], s[12:13], v[50:51]
	v_add_f64 v[86:87], v[114:115], v[86:87]
	v_mul_f64 v[68:69], v[68:69], s[18:19]
	v_fma_f64 v[108:109], s[2:3], v[44:45], v[70:71]
	v_fma_f64 v[44:45], v[44:45], s[2:3], -v[70:71]
	v_add_f64 v[46:47], v[2:3], v[46:47]
	v_fmac_f64_e32 v[102:103], s[0:1], v[48:49]
	v_add_f64 v[86:87], v[106:107], v[86:87]
	v_mul_f64 v[66:67], v[66:67], s[22:23]
	v_fma_f64 v[106:107], s[12:13], v[42:43], v[68:69]
	v_fma_f64 v[42:43], v[42:43], s[12:13], -v[68:69]
	v_add_f64 v[44:45], v[44:45], v[46:47]
	v_add_f64 v[98:99], v[102:103], v[86:87]
	v_mul_f64 v[102:103], v[62:63], s[28:29]
	v_fma_f64 v[104:105], s[16:17], v[40:41], v[66:67]
	v_fma_f64 v[40:41], v[40:41], s[16:17], -v[66:67]
	v_add_f64 v[42:43], v[42:43], v[44:45]
	v_mul_f64 v[86:87], v[60:61], s[30:31]
	v_fma_f64 v[62:63], s[20:21], v[38:39], v[102:103]
	v_mul_f64 v[84:85], v[84:85], s[4:5]
	v_fma_f64 v[38:39], v[38:39], s[20:21], -v[102:103]
	v_add_f64 v[40:41], v[40:41], v[42:43]
	v_fma_f64 v[60:61], s[26:27], v[36:37], v[86:87]
	v_fma_f64 v[112:113], v[58:59], s[0:1], -v[84:85]
	v_fma_f64 v[36:37], v[36:37], s[26:27], -v[86:87]
	v_add_f64 v[38:39], v[38:39], v[40:41]
	v_fmac_f64_e32 v[84:85], s[0:1], v[58:59]
	v_add_f64 v[110:111], v[2:3], v[110:111]
	v_add_f64 v[112:113], v[0:1], v[112:113]
	;; [unrolled: 1-line block ×18, first 2 shown]
	v_mul_f64 v[82:83], v[82:83], s[14:15]
	v_add_f64 v[2:3], v[2:3], v[168:169]
	v_add_f64 v[0:1], v[0:1], v[166:167]
	;; [unrolled: 1-line block ×3, first 2 shown]
	v_mul_f64 v[80:81], v[80:81], s[18:19]
	v_fma_f64 v[110:111], v[56:57], s[2:3], -v[82:83]
	v_fmac_f64_e32 v[82:83], s[2:3], v[56:57]
	v_add_f64 v[2:3], v[2:3], v[164:165]
	v_add_f64 v[0:1], v[0:1], v[162:163]
	v_add_f64 v[106:107], v[106:107], v[108:109]
	v_mul_f64 v[78:79], v[78:79], s[22:23]
	v_fma_f64 v[108:109], v[54:55], s[12:13], -v[80:81]
	v_add_f64 v[110:111], v[110:111], v[112:113]
	v_fmac_f64_e32 v[80:81], s[12:13], v[54:55]
	v_add_f64 v[36:37], v[82:83], v[36:37]
	v_add_f64 v[2:3], v[2:3], v[160:161]
	;; [unrolled: 1-line block ×4, first 2 shown]
	v_mul_f64 v[76:77], v[76:77], s[28:29]
	v_fma_f64 v[106:107], v[52:53], s[16:17], -v[78:79]
	v_add_f64 v[108:109], v[108:109], v[110:111]
	v_fmac_f64_e32 v[78:79], s[16:17], v[52:53]
	v_add_f64 v[36:37], v[80:81], v[36:37]
	v_add_f64 v[2:3], v[2:3], v[156:157]
	;; [unrolled: 1-line block ×3, first 2 shown]
	v_accvgpr_read_b32 v129, a65
	v_accvgpr_read_b32 v125, a61
	;; [unrolled: 1-line block ×3, first 2 shown]
	v_add_f64 v[62:63], v[62:63], v[104:105]
	v_mul_f64 v[74:75], v[74:75], s[30:31]
	v_fma_f64 v[104:105], v[50:51], s[20:21], -v[76:77]
	v_add_f64 v[106:107], v[106:107], v[108:109]
	v_fmac_f64_e32 v[76:77], s[20:21], v[50:51]
	v_add_f64 v[36:37], v[78:79], v[36:37]
	v_add_f64 v[2:3], v[2:3], v[152:153]
	v_accvgpr_read_b32 v133, a69
	v_accvgpr_read_b32 v137, a89
	;; [unrolled: 1-line block ×7, first 2 shown]
	v_add_f64 v[0:1], v[0:1], v[150:151]
	v_accvgpr_read_b32 v153, a81
	v_accvgpr_read_b32 v121, a72
	;; [unrolled: 1-line block ×14, first 2 shown]
	v_add_f64 v[62:63], v[60:61], v[62:63]
	v_fma_f64 v[60:61], v[48:49], s[26:27], -v[74:75]
	v_add_f64 v[104:105], v[104:105], v[106:107]
	v_fmac_f64_e32 v[74:75], s[26:27], v[48:49]
	v_add_f64 v[36:37], v[76:77], v[36:37]
	v_accvgpr_read_b32 v141, a143
	v_accvgpr_read_b32 v173, a147
	;; [unrolled: 1-line block ×31, first 2 shown]
	v_lshlrev_b32_e32 v4, 4, v174
	v_accvgpr_read_b32 v174, a148
	v_add_f64 v[60:61], v[60:61], v[104:105]
	v_add_f64 v[36:37], v[74:75], v[36:37]
	ds_write_b128 v4, v[0:3]
	ds_write_b128 v4, v[36:39] offset:16
	ds_write_b128 v4, v[98:101] offset:32
	ds_write_b128 v4, v[90:93] offset:48
	ds_write_b128 v4, v[28:31] offset:64
	ds_write_b128 v4, v[20:23] offset:80
	ds_write_b128 v4, v[12:15] offset:96
	ds_write_b128 v4, v[8:11] offset:112
	ds_write_b128 v4, v[16:19] offset:128
	ds_write_b128 v4, v[24:27] offset:144
	ds_write_b128 v4, v[32:35] offset:160
	ds_write_b128 v4, v[94:97] offset:176
	ds_write_b128 v4, v[60:63] offset:192
.LBB0_13:
	s_or_b64 exec, exec, s[44:45]
	s_waitcnt lgkmcnt(0)
	s_barrier
	ds_read_b128 v[0:3], v88 offset:9360
	ds_read_b128 v[4:7], v88 offset:18720
	;; [unrolled: 1-line block ×4, first 2 shown]
	s_mov_b32 s0, 0xe8584caa
	s_waitcnt lgkmcnt(3)
	v_mul_f64 v[26:27], v[124:125], v[2:3]
	v_fmac_f64_e32 v[26:27], v[122:123], v[0:1]
	s_waitcnt lgkmcnt(1)
	v_mul_f64 v[46:47], v[128:129], v[10:11]
	v_fmac_f64_e32 v[46:47], v[126:127], v[8:9]
	v_mul_f64 v[8:9], v[128:129], v[8:9]
	v_mul_f64 v[0:1], v[124:125], v[0:1]
	;; [unrolled: 1-line block ×3, first 2 shown]
	v_fma_f64 v[48:49], v[126:127], v[10:11], -v[8:9]
	ds_read_b128 v[8:11], v88 offset:22464
	v_fma_f64 v[28:29], v[122:123], v[2:3], -v[0:1]
	v_fmac_f64_e32 v[30:31], v[114:115], v[4:5]
	v_mul_f64 v[0:1], v[116:117], v[4:5]
	s_waitcnt lgkmcnt(1)
	v_mul_f64 v[4:5], v[132:133], v[12:13]
	v_fma_f64 v[36:37], v[114:115], v[6:7], -v[0:1]
	v_fma_f64 v[44:45], v[130:131], v[14:15], -v[4:5]
	ds_read_b128 v[4:7], v88 offset:13104
	s_waitcnt lgkmcnt(1)
	v_mul_f64 v[56:57], v[152:153], v[10:11]
	v_fmac_f64_e32 v[56:57], v[150:151], v[8:9]
	v_mul_f64 v[8:9], v[152:153], v[8:9]
	v_fma_f64 v[58:59], v[150:151], v[10:11], -v[8:9]
	ds_read_b128 v[8:11], v88 offset:24336
	s_waitcnt lgkmcnt(1)
	v_mul_f64 v[52:53], v[156:157], v[6:7]
	v_fmac_f64_e32 v[52:53], v[154:155], v[4:5]
	v_mul_f64 v[4:5], v[156:157], v[4:5]
	v_fma_f64 v[54:55], v[154:155], v[6:7], -v[4:5]
	ds_read_b128 v[4:7], v88 offset:14976
	v_mul_f64 v[38:39], v[132:133], v[14:15]
	ds_read_b128 v[14:17], v88 offset:26208
	s_waitcnt lgkmcnt(2)
	v_mul_f64 v[66:67], v[144:145], v[10:11]
	v_fmac_f64_e32 v[66:67], v[142:143], v[8:9]
	s_waitcnt lgkmcnt(1)
	v_mul_f64 v[60:61], v[136:137], v[6:7]
	v_fmac_f64_e32 v[60:61], v[134:135], v[4:5]
	v_mul_f64 v[4:5], v[136:137], v[4:5]
	v_fma_f64 v[62:63], v[134:135], v[6:7], -v[4:5]
	ds_read_b128 v[4:7], v88 offset:16848
	v_mul_f64 v[8:9], v[144:145], v[8:9]
	v_fmac_f64_e32 v[38:39], v[130:131], v[12:13]
	v_fma_f64 v[68:69], v[142:143], v[10:11], -v[8:9]
	v_accvgpr_read_b32 v10, a106
	v_accvgpr_read_b32 v12, a108
	;; [unrolled: 1-line block ×4, first 2 shown]
	s_waitcnt lgkmcnt(0)
	v_mul_f64 v[8:9], v[12:13], v[6:7]
	v_fmac_f64_e32 v[8:9], v[10:11], v[4:5]
	v_mul_f64 v[4:5], v[12:13], v[4:5]
	ds_read_b128 v[0:3], v88 offset:7488
	v_fma_f64 v[10:11], v[10:11], v[6:7], -v[4:5]
	ds_read_b128 v[4:7], v88
	v_mul_f64 v[12:13], v[170:171], v[16:17]
	v_fmac_f64_e32 v[12:13], v[168:169], v[14:15]
	v_mul_f64 v[14:15], v[170:171], v[14:15]
	v_fma_f64 v[70:71], v[168:169], v[16:17], -v[14:15]
	s_waitcnt lgkmcnt(0)
	v_add_f64 v[14:15], v[4:5], v[26:27]
	v_add_f64 v[16:17], v[6:7], v[28:29]
	;; [unrolled: 1-line block ×4, first 2 shown]
	ds_read_b128 v[18:21], v88 offset:1872
	ds_read_b128 v[22:25], v88 offset:3744
	;; [unrolled: 1-line block ×3, first 2 shown]
	s_waitcnt lgkmcnt(0)
	s_barrier
	ds_write_b128 v175, v[14:17]
	v_add_f64 v[14:15], v[26:27], v[30:31]
	v_fmac_f64_e32 v[4:5], -0.5, v[14:15]
	s_mov_b32 s1, 0xbfebb67a
	s_mov_b32 s3, 0x3febb67a
	;; [unrolled: 1-line block ×3, first 2 shown]
	v_add_f64 v[16:17], v[28:29], -v[36:37]
	v_fma_f64 v[14:15], s[0:1], v[16:17], v[4:5]
	v_fmac_f64_e32 v[4:5], s[2:3], v[16:17]
	v_add_f64 v[16:17], v[28:29], v[36:37]
	v_fmac_f64_e32 v[6:7], -0.5, v[16:17]
	v_add_f64 v[26:27], v[26:27], -v[30:31]
	v_fma_f64 v[16:17], s[2:3], v[26:27], v[6:7]
	v_fmac_f64_e32 v[6:7], s[0:1], v[26:27]
	v_add_f64 v[26:27], v[18:19], v[38:39]
	v_add_f64 v[40:41], v[26:27], v[46:47]
	;; [unrolled: 1-line block ×5, first 2 shown]
	v_fmac_f64_e32 v[20:21], -0.5, v[26:27]
	v_add_f64 v[26:27], v[38:39], -v[46:47]
	v_add_f64 v[28:29], v[38:39], v[46:47]
	v_fma_f64 v[38:39], s[2:3], v[26:27], v[20:21]
	v_fmac_f64_e32 v[20:21], s[0:1], v[26:27]
	v_add_f64 v[26:27], v[22:23], v[52:53]
	v_fmac_f64_e32 v[18:19], -0.5, v[28:29]
	v_add_f64 v[28:29], v[44:45], -v[48:49]
	v_add_f64 v[48:49], v[26:27], v[56:57]
	v_add_f64 v[26:27], v[24:25], v[54:55]
	;; [unrolled: 1-line block ×4, first 2 shown]
	v_fmac_f64_e32 v[24:25], -0.5, v[26:27]
	v_add_f64 v[26:27], v[52:53], -v[56:57]
	v_fma_f64 v[46:47], s[2:3], v[26:27], v[24:25]
	v_fmac_f64_e32 v[24:25], s[0:1], v[26:27]
	v_add_f64 v[26:27], v[32:33], v[60:61]
	v_fma_f64 v[36:37], s[0:1], v[28:29], v[18:19]
	v_fmac_f64_e32 v[18:19], s[2:3], v[28:29]
	v_add_f64 v[28:29], v[52:53], v[56:57]
	v_add_f64 v[56:57], v[26:27], v[66:67]
	;; [unrolled: 1-line block ×3, first 2 shown]
	v_fmac_f64_e32 v[22:23], -0.5, v[28:29]
	v_add_f64 v[28:29], v[54:55], -v[58:59]
	v_add_f64 v[58:59], v[26:27], v[68:69]
	v_add_f64 v[26:27], v[62:63], v[68:69]
	v_fmac_f64_e32 v[34:35], -0.5, v[26:27]
	v_add_f64 v[26:27], v[60:61], -v[66:67]
	ds_write_b128 v175, v[14:17] offset:208
	v_add_f64 v[16:17], v[0:1], v[8:9]
	v_fma_f64 v[44:45], s[0:1], v[28:29], v[22:23]
	v_fmac_f64_e32 v[22:23], s[2:3], v[28:29]
	v_add_f64 v[28:29], v[60:61], v[66:67]
	v_fma_f64 v[54:55], s[2:3], v[26:27], v[34:35]
	v_fmac_f64_e32 v[34:35], s[0:1], v[26:27]
	v_add_f64 v[14:15], v[8:9], v[12:13]
	v_add_f64 v[26:27], v[10:11], -v[70:71]
	v_add_f64 v[60:61], v[16:17], v[12:13]
	v_add_f64 v[16:17], v[2:3], v[10:11]
	;; [unrolled: 1-line block ×3, first 2 shown]
	v_fmac_f64_e32 v[32:33], -0.5, v[28:29]
	v_add_f64 v[28:29], v[62:63], -v[68:69]
	v_fmac_f64_e32 v[0:1], -0.5, v[14:15]
	v_add_f64 v[62:63], v[16:17], v[70:71]
	v_fmac_f64_e32 v[2:3], -0.5, v[10:11]
	v_add_f64 v[8:9], v[8:9], -v[12:13]
	v_accvgpr_read_b32 v68, a114
	v_fma_f64 v[52:53], s[0:1], v[28:29], v[32:33]
	v_fmac_f64_e32 v[32:33], s[2:3], v[28:29]
	v_fma_f64 v[14:15], s[0:1], v[26:27], v[0:1]
	v_fmac_f64_e32 v[0:1], s[2:3], v[26:27]
	;; [unrolled: 2-line block ×3, first 2 shown]
	v_accvgpr_read_b32 v70, a116
	v_accvgpr_read_b32 v71, a117
	ds_write_b128 v175, v[4:7] offset:416
	ds_write_b128 v118, v[40:43]
	ds_write_b128 v118, v[36:39] offset:208
	ds_write_b128 v118, v[18:21] offset:416
	ds_write_b128 v119, v[48:51]
	ds_write_b128 v119, v[44:47] offset:208
	;; [unrolled: 3-line block ×4, first 2 shown]
	ds_write_b128 v121, v[0:3] offset:416
	s_waitcnt lgkmcnt(0)
	s_barrier
	ds_read_b128 v[0:3], v88
	ds_read_b128 v[4:7], v88 offset:1872
	ds_read_b128 v[20:23], v88 offset:18720
	;; [unrolled: 1-line block ×12, first 2 shown]
	v_accvgpr_read_b32 v69, a115
	s_waitcnt lgkmcnt(8)
	v_mul_f64 v[66:67], v[70:71], v[34:35]
	v_fmac_f64_e32 v[66:67], v[68:69], v[32:33]
	v_mul_f64 v[32:33], v[70:71], v[32:33]
	v_fma_f64 v[68:69], v[68:69], v[34:35], -v[32:33]
	v_accvgpr_read_b32 v32, a110
	v_accvgpr_read_b32 v34, a112
	;; [unrolled: 1-line block ×4, first 2 shown]
	v_mul_f64 v[70:71], v[34:35], v[26:27]
	v_fmac_f64_e32 v[70:71], v[32:33], v[24:25]
	v_mul_f64 v[24:25], v[34:35], v[24:25]
	v_fma_f64 v[72:73], v[32:33], v[26:27], -v[24:25]
	v_accvgpr_read_b32 v32, a122
	v_accvgpr_read_b32 v34, a124
	v_accvgpr_read_b32 v35, a125
	v_accvgpr_read_b32 v33, a123
	s_waitcnt lgkmcnt(7)
	v_mul_f64 v[74:75], v[34:35], v[38:39]
	v_mul_f64 v[24:25], v[34:35], v[36:37]
	v_fmac_f64_e32 v[74:75], v[32:33], v[36:37]
	v_fma_f64 v[76:77], v[32:33], v[38:39], -v[24:25]
	v_accvgpr_read_b32 v32, a118
	v_accvgpr_read_b32 v34, a120
	;; [unrolled: 1-line block ×4, first 2 shown]
	s_waitcnt lgkmcnt(3)
	v_mul_f64 v[78:79], v[34:35], v[46:47]
	v_mul_f64 v[24:25], v[34:35], v[44:45]
	v_fmac_f64_e32 v[78:79], v[32:33], v[44:45]
	v_fma_f64 v[46:47], v[32:33], v[46:47], -v[24:25]
	v_accvgpr_read_b32 v32, a130
	v_mul_f64 v[56:57], v[160:161], v[42:43]
	v_accvgpr_read_b32 v34, a132
	v_accvgpr_read_b32 v35, a133
	v_fmac_f64_e32 v[56:57], v[158:159], v[40:41]
	v_mul_f64 v[40:41], v[160:161], v[40:41]
	v_accvgpr_read_b32 v33, a131
	s_waitcnt lgkmcnt(0)
	v_mul_f64 v[80:81], v[34:35], v[54:55]
	v_mul_f64 v[24:25], v[34:35], v[52:53]
	v_fma_f64 v[58:59], v[158:159], v[42:43], -v[40:41]
	ds_read_b128 v[40:43], v88 offset:16848
	v_fmac_f64_e32 v[80:81], v[32:33], v[52:53]
	v_fma_f64 v[54:55], v[32:33], v[54:55], -v[24:25]
	v_accvgpr_read_b32 v32, a126
	v_mul_f64 v[60:61], v[148:149], v[22:23]
	v_accvgpr_read_b32 v34, a128
	v_accvgpr_read_b32 v35, a129
	v_fmac_f64_e32 v[60:61], v[146:147], v[20:21]
	v_mul_f64 v[20:21], v[148:149], v[20:21]
	v_accvgpr_read_b32 v33, a127
	v_mul_f64 v[82:83], v[34:35], v[50:51]
	v_mul_f64 v[24:25], v[34:35], v[48:49]
	v_fma_f64 v[62:63], v[146:147], v[22:23], -v[20:21]
	ds_read_b128 v[20:23], v88 offset:26208
	v_fmac_f64_e32 v[82:83], v[32:33], v[48:49]
	v_fma_f64 v[84:85], v[32:33], v[50:51], -v[24:25]
	v_accvgpr_read_b32 v32, a138
	v_accvgpr_read_b32 v34, a140
	;; [unrolled: 1-line block ×4, first 2 shown]
	s_waitcnt lgkmcnt(1)
	v_mul_f64 v[24:25], v[34:35], v[40:41]
	v_fma_f64 v[90:91], v[32:33], v[42:43], -v[24:25]
	v_accvgpr_read_b32 v24, a134
	v_accvgpr_read_b32 v26, a136
	;; [unrolled: 1-line block ×4, first 2 shown]
	s_waitcnt lgkmcnt(0)
	v_mul_f64 v[92:93], v[26:27], v[22:23]
	v_fmac_f64_e32 v[92:93], v[24:25], v[20:21]
	v_mul_f64 v[20:21], v[26:27], v[20:21]
	v_fma_f64 v[94:95], v[24:25], v[22:23], -v[20:21]
	v_add_f64 v[22:23], v[56:57], v[60:61]
	v_mul_f64 v[86:87], v[34:35], v[42:43]
	v_add_f64 v[20:21], v[0:1], v[56:57]
	v_fmac_f64_e32 v[0:1], -0.5, v[22:23]
	v_add_f64 v[22:23], v[58:59], -v[62:63]
	v_add_f64 v[26:27], v[58:59], v[62:63]
	v_fmac_f64_e32 v[86:87], v[32:33], v[40:41]
	v_fma_f64 v[24:25], s[0:1], v[22:23], v[0:1]
	v_fmac_f64_e32 v[0:1], s[2:3], v[22:23]
	v_add_f64 v[22:23], v[2:3], v[58:59]
	v_fmac_f64_e32 v[2:3], -0.5, v[26:27]
	v_add_f64 v[32:33], v[56:57], -v[60:61]
	v_add_f64 v[34:35], v[66:67], v[70:71]
	v_fma_f64 v[26:27], s[2:3], v[32:33], v[2:3]
	v_fmac_f64_e32 v[2:3], s[0:1], v[32:33]
	v_add_f64 v[32:33], v[4:5], v[66:67]
	v_fmac_f64_e32 v[4:5], -0.5, v[34:35]
	v_add_f64 v[34:35], v[68:69], -v[72:73]
	v_add_f64 v[38:39], v[68:69], v[72:73]
	;; [unrolled: 6-line block ×3, first 2 shown]
	v_fma_f64 v[38:39], s[2:3], v[40:41], v[6:7]
	v_fmac_f64_e32 v[6:7], s[0:1], v[40:41]
	v_add_f64 v[40:41], v[8:9], v[74:75]
	v_fmac_f64_e32 v[8:9], -0.5, v[42:43]
	v_add_f64 v[42:43], v[76:77], -v[46:47]
	v_fma_f64 v[44:45], s[0:1], v[42:43], v[8:9]
	v_fmac_f64_e32 v[8:9], s[2:3], v[42:43]
	v_add_f64 v[42:43], v[10:11], v[76:77]
	v_add_f64 v[42:43], v[42:43], v[46:47]
	;; [unrolled: 1-line block ×3, first 2 shown]
	v_fmac_f64_e32 v[10:11], -0.5, v[46:47]
	v_add_f64 v[48:49], v[74:75], -v[78:79]
	v_add_f64 v[50:51], v[80:81], v[82:83]
	v_fma_f64 v[46:47], s[2:3], v[48:49], v[10:11]
	v_fmac_f64_e32 v[10:11], s[0:1], v[48:49]
	v_add_f64 v[48:49], v[12:13], v[80:81]
	v_fmac_f64_e32 v[12:13], -0.5, v[50:51]
	v_add_f64 v[50:51], v[54:55], -v[84:85]
	v_fma_f64 v[52:53], s[0:1], v[50:51], v[12:13]
	v_fmac_f64_e32 v[12:13], s[2:3], v[50:51]
	v_add_f64 v[50:51], v[14:15], v[54:55]
	v_add_f64 v[54:55], v[54:55], v[84:85]
	v_fmac_f64_e32 v[14:15], -0.5, v[54:55]
	v_add_f64 v[56:57], v[80:81], -v[82:83]
	v_add_f64 v[58:59], v[86:87], v[92:93]
	v_add_f64 v[22:23], v[22:23], v[62:63]
	v_fma_f64 v[54:55], s[2:3], v[56:57], v[14:15]
	v_fmac_f64_e32 v[14:15], s[0:1], v[56:57]
	v_add_f64 v[56:57], v[16:17], v[86:87]
	v_fmac_f64_e32 v[16:17], -0.5, v[58:59]
	v_add_f64 v[58:59], v[90:91], -v[94:95]
	v_add_f64 v[62:63], v[90:91], v[94:95]
	v_add_f64 v[20:21], v[20:21], v[60:61]
	v_fma_f64 v[60:61], s[0:1], v[58:59], v[16:17]
	v_fmac_f64_e32 v[16:17], s[2:3], v[58:59]
	v_add_f64 v[58:59], v[18:19], v[90:91]
	v_fmac_f64_e32 v[18:19], -0.5, v[62:63]
	v_add_f64 v[66:67], v[86:87], -v[92:93]
	v_add_f64 v[32:33], v[32:33], v[70:71]
	v_add_f64 v[34:35], v[34:35], v[72:73]
	;; [unrolled: 1-line block ×7, first 2 shown]
	v_fma_f64 v[62:63], s[2:3], v[66:67], v[18:19]
	v_fmac_f64_e32 v[18:19], s[0:1], v[66:67]
	s_barrier
	ds_write_b128 v138, v[20:23]
	ds_write_b128 v138, v[24:27] offset:624
	ds_write_b128 v138, v[0:3] offset:1248
	ds_write_b128 v139, v[32:35]
	ds_write_b128 v139, v[36:39] offset:624
	ds_write_b128 v139, v[4:7] offset:1248
	;; [unrolled: 3-line block ×5, first 2 shown]
	s_waitcnt lgkmcnt(0)
	s_barrier
	ds_read_b128 v[0:3], v88
	ds_read_b128 v[4:7], v88 offset:1872
	ds_read_b128 v[20:23], v88 offset:18720
	;; [unrolled: 1-line block ×14, first 2 shown]
	s_waitcnt lgkmcnt(4)
	v_mul_f64 v[66:67], v[182:183], v[50:51]
	v_fmac_f64_e32 v[66:67], v[180:181], v[48:49]
	v_mul_f64 v[48:49], v[182:183], v[48:49]
	v_fma_f64 v[48:49], v[180:181], v[50:51], -v[48:49]
	v_mul_f64 v[50:51], v[178:179], v[22:23]
	v_fmac_f64_e32 v[50:51], v[176:177], v[20:21]
	v_mul_f64 v[20:21], v[178:179], v[20:21]
	v_fma_f64 v[68:69], v[176:177], v[22:23], -v[20:21]
	v_mul_f64 v[20:21], v[182:183], v[32:33]
	v_fma_f64 v[72:73], v[180:181], v[34:35], -v[20:21]
	;; [unrolled: 2-line block ×5, first 2 shown]
	s_waitcnt lgkmcnt(2)
	v_mul_f64 v[20:21], v[198:199], v[52:53]
	v_mul_f64 v[86:87], v[198:199], v[54:55]
	v_fma_f64 v[54:55], v[196:197], v[54:55], -v[20:21]
	v_mul_f64 v[20:21], v[194:195], v[44:45]
	v_fma_f64 v[92:93], v[192:193], v[46:47], -v[20:21]
	s_waitcnt lgkmcnt(1)
	v_mul_f64 v[20:21], v[206:207], v[56:57]
	v_mul_f64 v[70:71], v[182:183], v[34:35]
	;; [unrolled: 1-line block ×3, first 2 shown]
	v_fma_f64 v[96:97], v[204:205], v[58:59], -v[20:21]
	s_waitcnt lgkmcnt(0)
	v_mul_f64 v[20:21], v[202:203], v[60:61]
	v_add_f64 v[22:23], v[66:67], v[50:51]
	v_fmac_f64_e32 v[70:71], v[180:181], v[32:33]
	v_fmac_f64_e32 v[74:75], v[176:177], v[24:25]
	v_mul_f64 v[98:99], v[202:203], v[62:63]
	v_fma_f64 v[62:63], v[200:201], v[62:63], -v[20:21]
	v_add_f64 v[20:21], v[0:1], v[66:67]
	v_fmac_f64_e32 v[0:1], -0.5, v[22:23]
	v_add_f64 v[22:23], v[48:49], -v[68:69]
	v_add_f64 v[26:27], v[48:49], v[68:69]
	v_mul_f64 v[78:79], v[190:191], v[38:39]
	v_mul_f64 v[82:83], v[186:187], v[42:43]
	v_fma_f64 v[24:25], s[0:1], v[22:23], v[0:1]
	v_fmac_f64_e32 v[0:1], s[2:3], v[22:23]
	v_add_f64 v[22:23], v[2:3], v[48:49]
	v_fmac_f64_e32 v[2:3], -0.5, v[26:27]
	v_add_f64 v[32:33], v[66:67], -v[50:51]
	v_add_f64 v[34:35], v[70:71], v[74:75]
	v_fmac_f64_e32 v[78:79], v[188:189], v[36:37]
	v_fmac_f64_e32 v[82:83], v[184:185], v[40:41]
	v_fma_f64 v[26:27], s[2:3], v[32:33], v[2:3]
	v_fmac_f64_e32 v[2:3], s[0:1], v[32:33]
	v_add_f64 v[32:33], v[4:5], v[70:71]
	v_fmac_f64_e32 v[4:5], -0.5, v[34:35]
	v_add_f64 v[34:35], v[72:73], -v[76:77]
	v_add_f64 v[38:39], v[72:73], v[76:77]
	v_mul_f64 v[90:91], v[194:195], v[46:47]
	v_fma_f64 v[36:37], s[0:1], v[34:35], v[4:5]
	v_fmac_f64_e32 v[4:5], s[2:3], v[34:35]
	v_add_f64 v[34:35], v[6:7], v[72:73]
	v_fmac_f64_e32 v[6:7], -0.5, v[38:39]
	v_add_f64 v[40:41], v[70:71], -v[74:75]
	v_add_f64 v[42:43], v[78:79], v[82:83]
	v_fmac_f64_e32 v[86:87], v[196:197], v[52:53]
	v_fmac_f64_e32 v[90:91], v[192:193], v[44:45]
	v_fma_f64 v[38:39], s[2:3], v[40:41], v[6:7]
	v_fmac_f64_e32 v[6:7], s[0:1], v[40:41]
	v_add_f64 v[40:41], v[8:9], v[78:79]
	v_fmac_f64_e32 v[8:9], -0.5, v[42:43]
	v_add_f64 v[42:43], v[80:81], -v[84:85]
	v_add_f64 v[46:47], v[80:81], v[84:85]
	v_add_f64 v[20:21], v[20:21], v[50:51]
	v_fma_f64 v[44:45], s[0:1], v[42:43], v[8:9]
	v_fmac_f64_e32 v[8:9], s[2:3], v[42:43]
	v_add_f64 v[42:43], v[10:11], v[80:81]
	v_fmac_f64_e32 v[10:11], -0.5, v[46:47]
	v_add_f64 v[48:49], v[78:79], -v[82:83]
	v_add_f64 v[50:51], v[86:87], v[90:91]
	v_mul_f64 v[94:95], v[206:207], v[58:59]
	v_fma_f64 v[46:47], s[2:3], v[48:49], v[10:11]
	v_fmac_f64_e32 v[10:11], s[0:1], v[48:49]
	v_add_f64 v[48:49], v[12:13], v[86:87]
	v_fmac_f64_e32 v[12:13], -0.5, v[50:51]
	v_add_f64 v[50:51], v[54:55], -v[92:93]
	v_fmac_f64_e32 v[94:95], v[204:205], v[56:57]
	v_fmac_f64_e32 v[98:99], v[200:201], v[60:61]
	v_fma_f64 v[52:53], s[0:1], v[50:51], v[12:13]
	v_fmac_f64_e32 v[12:13], s[2:3], v[50:51]
	v_add_f64 v[50:51], v[14:15], v[54:55]
	v_add_f64 v[54:55], v[54:55], v[92:93]
	v_fmac_f64_e32 v[14:15], -0.5, v[54:55]
	v_add_f64 v[56:57], v[86:87], -v[90:91]
	v_add_f64 v[58:59], v[94:95], v[98:99]
	v_fma_f64 v[54:55], s[2:3], v[56:57], v[14:15]
	v_fmac_f64_e32 v[14:15], s[0:1], v[56:57]
	v_add_f64 v[56:57], v[16:17], v[94:95]
	v_fmac_f64_e32 v[16:17], -0.5, v[58:59]
	v_add_f64 v[58:59], v[96:97], -v[62:63]
	v_fma_f64 v[60:61], s[0:1], v[58:59], v[16:17]
	v_fmac_f64_e32 v[16:17], s[2:3], v[58:59]
	v_add_f64 v[58:59], v[18:19], v[96:97]
	v_add_f64 v[58:59], v[58:59], v[62:63]
	;; [unrolled: 1-line block ×3, first 2 shown]
	v_fmac_f64_e32 v[18:19], -0.5, v[62:63]
	v_add_f64 v[66:67], v[94:95], -v[98:99]
	v_add_f64 v[22:23], v[22:23], v[68:69]
	v_add_f64 v[32:33], v[32:33], v[74:75]
	;; [unrolled: 1-line block ×7, first 2 shown]
	v_fma_f64 v[62:63], s[2:3], v[66:67], v[18:19]
	v_fmac_f64_e32 v[18:19], s[0:1], v[66:67]
	v_add_f64 v[40:41], v[40:41], v[82:83]
	s_barrier
	ds_write_b128 v88, v[20:23]
	ds_write_b128 v88, v[24:27] offset:1872
	ds_write_b128 v88, v[0:3] offset:3744
	;; [unrolled: 1-line block ×14, first 2 shown]
	s_waitcnt lgkmcnt(0)
	s_barrier
	ds_read_b128 v[0:3], v88
	ds_read_b128 v[4:7], v88 offset:1872
	ds_read_b128 v[12:15], v88 offset:11232
	;; [unrolled: 1-line block ×14, first 2 shown]
	s_waitcnt lgkmcnt(12)
	v_mul_f64 v[72:73], v[222:223], v[14:15]
	v_fmac_f64_e32 v[72:73], v[220:221], v[12:13]
	v_mul_f64 v[12:13], v[222:223], v[12:13]
	v_fma_f64 v[74:75], v[220:221], v[14:15], -v[12:13]
	s_waitcnt lgkmcnt(4)
	v_mul_f64 v[12:13], v[218:219], v[46:47]
	v_mul_f64 v[76:77], v[218:219], v[48:49]
	v_fma_f64 v[48:49], v[216:217], v[48:49], -v[12:13]
	v_mul_f64 v[12:13], v[210:211], v[20:21]
	v_fma_f64 v[80:81], v[208:209], v[22:23], -v[12:13]
	;; [unrolled: 2-line block ×4, first 2 shown]
	s_waitcnt lgkmcnt(2)
	v_mul_f64 v[12:13], v[230:231], v[54:55]
	v_mul_f64 v[62:63], v[214:215], v[34:35]
	v_fma_f64 v[94:95], v[228:229], v[56:57], -v[12:13]
	v_mul_f64 v[12:13], v[234:235], v[24:25]
	v_fmac_f64_e32 v[62:63], v[212:213], v[32:33]
	v_mul_f64 v[32:33], v[214:215], v[32:33]
	v_fma_f64 v[98:99], v[232:233], v[26:27], -v[12:13]
	v_mul_f64 v[12:13], v[242:243], v[42:43]
	v_fma_f64 v[70:71], v[212:213], v[34:35], -v[32:33]
	v_fma_f64 v[32:33], v[240:241], v[44:45], -v[12:13]
	v_mul_f64 v[12:13], v[254:255], v[50:51]
	v_mul_f64 v[82:83], v[226:227], v[38:39]
	v_fma_f64 v[34:35], v[252:253], v[52:53], -v[12:13]
	s_waitcnt lgkmcnt(1)
	v_mul_f64 v[12:13], v[250:251], v[58:59]
	v_fmac_f64_e32 v[82:83], v[224:225], v[36:37]
	v_fma_f64 v[36:37], v[248:249], v[60:61], -v[12:13]
	s_waitcnt lgkmcnt(0)
	v_mul_f64 v[12:13], v[246:247], v[66:67]
	v_fma_f64 v[38:39], v[244:245], v[68:69], -v[12:13]
	v_add_f64 v[12:13], v[0:1], v[62:63]
	v_fmac_f64_e32 v[76:77], v[216:217], v[46:47]
	v_mul_f64 v[78:79], v[210:211], v[22:23]
	v_add_f64 v[12:13], v[12:13], v[72:73]
	v_fmac_f64_e32 v[78:79], v[208:209], v[20:21]
	v_mul_f64 v[86:87], v[238:239], v[18:19]
	v_add_f64 v[12:13], v[12:13], v[76:77]
	v_accvgpr_read_b32 v100, a0
	v_fmac_f64_e32 v[86:87], v[236:237], v[16:17]
	v_add_f64 v[16:17], v[12:13], v[78:79]
	v_add_f64 v[12:13], v[72:73], v[76:77]
	s_mov_b32 s2, 0x134454ff
	v_mad_u64_u32 v[28:29], s[4:5], s10, v100, 0
	v_mul_f64 v[96:97], v[234:235], v[26:27]
	v_fma_f64 v[12:13], -0.5, v[12:13], v[0:1]
	v_add_f64 v[14:15], v[70:71], -v[80:81]
	s_mov_b32 s3, 0xbfee6f0e
	s_mov_b32 s0, 0x4755a5e
	;; [unrolled: 1-line block ×4, first 2 shown]
	v_fmac_f64_e32 v[96:97], v[232:233], v[24:25]
	v_fma_f64 v[20:21], s[2:3], v[14:15], v[12:13]
	v_add_f64 v[18:19], v[74:75], -v[48:49]
	s_mov_b32 s1, 0xbfe2cf23
	v_add_f64 v[22:23], v[62:63], -v[72:73]
	v_add_f64 v[24:25], v[78:79], -v[76:77]
	s_mov_b32 s4, 0x372fe950
	v_fmac_f64_e32 v[12:13], s[12:13], v[14:15]
	s_mov_b32 s15, 0x3fe2cf23
	s_mov_b32 s14, s0
	v_fmac_f64_e32 v[20:21], s[0:1], v[18:19]
	v_add_f64 v[22:23], v[22:23], v[24:25]
	s_mov_b32 s5, 0x3fd3c6ef
	v_fmac_f64_e32 v[12:13], s[14:15], v[18:19]
	v_fmac_f64_e32 v[20:21], s[4:5], v[22:23]
	;; [unrolled: 1-line block ×3, first 2 shown]
	v_add_f64 v[22:23], v[62:63], v[78:79]
	v_fmac_f64_e32 v[0:1], -0.5, v[22:23]
	v_fma_f64 v[24:25], s[12:13], v[18:19], v[0:1]
	v_fmac_f64_e32 v[0:1], s[2:3], v[18:19]
	v_fmac_f64_e32 v[24:25], s[0:1], v[14:15]
	;; [unrolled: 1-line block ×3, first 2 shown]
	v_add_f64 v[14:15], v[2:3], v[70:71]
	v_add_f64 v[14:15], v[14:15], v[74:75]
	v_mul_f64 v[40:41], v[242:243], v[44:45]
	v_add_f64 v[14:15], v[14:15], v[48:49]
	v_fmac_f64_e32 v[40:41], v[240:241], v[42:43]
	v_mul_f64 v[42:43], v[254:255], v[52:53]
	v_add_f64 v[22:23], v[72:73], -v[62:63]
	v_add_f64 v[26:27], v[76:77], -v[78:79]
	v_add_f64 v[18:19], v[14:15], v[80:81]
	v_add_f64 v[14:15], v[74:75], v[48:49]
	v_mul_f64 v[92:93], v[230:231], v[56:57]
	v_fmac_f64_e32 v[42:43], v[252:253], v[50:51]
	v_add_f64 v[22:23], v[22:23], v[26:27]
	v_fma_f64 v[14:15], -0.5, v[14:15], v[2:3]
	v_add_f64 v[50:51], v[62:63], -v[78:79]
	v_fmac_f64_e32 v[92:93], v[228:229], v[54:55]
	v_fmac_f64_e32 v[24:25], s[4:5], v[22:23]
	;; [unrolled: 1-line block ×3, first 2 shown]
	v_fma_f64 v[22:23], s[12:13], v[50:51], v[14:15]
	v_add_f64 v[52:53], v[72:73], -v[76:77]
	v_add_f64 v[26:27], v[70:71], -v[74:75]
	;; [unrolled: 1-line block ×3, first 2 shown]
	v_fmac_f64_e32 v[14:15], s[2:3], v[50:51]
	v_fmac_f64_e32 v[22:23], s[14:15], v[52:53]
	v_add_f64 v[26:27], v[26:27], v[54:55]
	v_fmac_f64_e32 v[14:15], s[0:1], v[52:53]
	v_fmac_f64_e32 v[22:23], s[4:5], v[26:27]
	;; [unrolled: 1-line block ×3, first 2 shown]
	v_add_f64 v[26:27], v[70:71], v[80:81]
	v_fmac_f64_e32 v[2:3], -0.5, v[26:27]
	v_fma_f64 v[26:27], s[2:3], v[52:53], v[2:3]
	v_fmac_f64_e32 v[2:3], s[12:13], v[52:53]
	v_fmac_f64_e32 v[26:27], s[14:15], v[50:51]
	v_fmac_f64_e32 v[2:3], s[0:1], v[50:51]
	v_add_f64 v[50:51], v[86:87], v[92:93]
	v_mul_f64 v[44:45], v[250:251], v[60:61]
	v_add_f64 v[54:55], v[74:75], -v[70:71]
	v_add_f64 v[48:49], v[48:49], -v[80:81]
	v_fma_f64 v[52:53], -0.5, v[50:51], v[4:5]
	v_add_f64 v[50:51], v[84:85], -v[98:99]
	v_fmac_f64_e32 v[44:45], v[248:249], v[58:59]
	v_add_f64 v[48:49], v[54:55], v[48:49]
	v_fma_f64 v[56:57], s[2:3], v[50:51], v[52:53]
	v_add_f64 v[54:55], v[90:91], -v[94:95]
	v_add_f64 v[58:59], v[82:83], -v[86:87]
	;; [unrolled: 1-line block ×3, first 2 shown]
	v_fmac_f64_e32 v[52:53], s[12:13], v[50:51]
	v_fmac_f64_e32 v[56:57], s[0:1], v[54:55]
	v_add_f64 v[58:59], v[58:59], v[60:61]
	v_fmac_f64_e32 v[52:53], s[14:15], v[54:55]
	v_fmac_f64_e32 v[56:57], s[4:5], v[58:59]
	;; [unrolled: 1-line block ×3, first 2 shown]
	v_add_f64 v[58:59], v[82:83], v[96:97]
	v_fmac_f64_e32 v[26:27], s[4:5], v[48:49]
	v_fmac_f64_e32 v[2:3], s[4:5], v[48:49]
	v_add_f64 v[48:49], v[4:5], v[82:83]
	v_fmac_f64_e32 v[4:5], -0.5, v[58:59]
	v_mul_f64 v[46:47], v[246:247], v[68:69]
	v_fma_f64 v[60:61], s[12:13], v[54:55], v[4:5]
	v_add_f64 v[58:59], v[86:87], -v[82:83]
	v_add_f64 v[62:63], v[92:93], -v[96:97]
	v_fmac_f64_e32 v[4:5], s[2:3], v[54:55]
	v_add_f64 v[54:55], v[90:91], v[94:95]
	v_fmac_f64_e32 v[46:47], v[244:245], v[66:67]
	v_fmac_f64_e32 v[60:61], s[0:1], v[50:51]
	v_add_f64 v[58:59], v[58:59], v[62:63]
	v_fmac_f64_e32 v[4:5], s[14:15], v[50:51]
	v_fma_f64 v[54:55], -0.5, v[54:55], v[6:7]
	v_add_f64 v[66:67], v[82:83], -v[96:97]
	v_fmac_f64_e32 v[60:61], s[4:5], v[58:59]
	v_fmac_f64_e32 v[4:5], s[4:5], v[58:59]
	v_fma_f64 v[58:59], s[12:13], v[66:67], v[54:55]
	v_add_f64 v[68:69], v[86:87], -v[92:93]
	v_add_f64 v[62:63], v[84:85], -v[90:91]
	;; [unrolled: 1-line block ×3, first 2 shown]
	v_fmac_f64_e32 v[54:55], s[2:3], v[66:67]
	v_fmac_f64_e32 v[58:59], s[14:15], v[68:69]
	v_add_f64 v[62:63], v[62:63], v[70:71]
	v_fmac_f64_e32 v[54:55], s[0:1], v[68:69]
	v_fmac_f64_e32 v[58:59], s[4:5], v[62:63]
	;; [unrolled: 1-line block ×3, first 2 shown]
	v_add_f64 v[62:63], v[84:85], v[98:99]
	v_add_f64 v[50:51], v[6:7], v[84:85]
	v_fmac_f64_e32 v[6:7], -0.5, v[62:63]
	v_fma_f64 v[62:63], s[2:3], v[68:69], v[6:7]
	v_add_f64 v[70:71], v[90:91], -v[84:85]
	v_add_f64 v[72:73], v[94:95], -v[98:99]
	v_fmac_f64_e32 v[6:7], s[12:13], v[68:69]
	v_fmac_f64_e32 v[62:63], s[14:15], v[66:67]
	v_add_f64 v[70:71], v[70:71], v[72:73]
	v_fmac_f64_e32 v[6:7], s[0:1], v[66:67]
	v_add_f64 v[68:69], v[42:43], v[44:45]
	v_fmac_f64_e32 v[62:63], s[4:5], v[70:71]
	v_fmac_f64_e32 v[6:7], s[4:5], v[70:71]
	v_fma_f64 v[70:71], -0.5, v[68:69], v[8:9]
	v_add_f64 v[68:69], v[32:33], -v[38:39]
	v_fma_f64 v[74:75], s[2:3], v[68:69], v[70:71]
	v_add_f64 v[72:73], v[34:35], -v[36:37]
	v_add_f64 v[76:77], v[40:41], -v[42:43]
	;; [unrolled: 1-line block ×3, first 2 shown]
	v_fmac_f64_e32 v[70:71], s[12:13], v[68:69]
	v_fmac_f64_e32 v[74:75], s[0:1], v[72:73]
	v_add_f64 v[76:77], v[76:77], v[78:79]
	v_fmac_f64_e32 v[70:71], s[14:15], v[72:73]
	v_fmac_f64_e32 v[74:75], s[4:5], v[76:77]
	;; [unrolled: 1-line block ×3, first 2 shown]
	v_add_f64 v[76:77], v[40:41], v[46:47]
	v_add_f64 v[66:67], v[8:9], v[40:41]
	v_fmac_f64_e32 v[8:9], -0.5, v[76:77]
	v_add_f64 v[66:67], v[66:67], v[42:43]
	v_fma_f64 v[78:79], s[12:13], v[72:73], v[8:9]
	v_add_f64 v[76:77], v[42:43], -v[40:41]
	v_add_f64 v[80:81], v[44:45], -v[46:47]
	v_fmac_f64_e32 v[8:9], s[2:3], v[72:73]
	v_add_f64 v[72:73], v[34:35], v[36:37]
	v_add_f64 v[66:67], v[66:67], v[44:45]
	v_fmac_f64_e32 v[78:79], s[0:1], v[68:69]
	v_add_f64 v[76:77], v[76:77], v[80:81]
	v_fmac_f64_e32 v[8:9], s[14:15], v[68:69]
	v_fma_f64 v[72:73], -0.5, v[72:73], v[10:11]
	v_add_f64 v[40:41], v[40:41], -v[46:47]
	v_add_f64 v[66:67], v[66:67], v[46:47]
	v_fmac_f64_e32 v[78:79], s[4:5], v[76:77]
	v_fmac_f64_e32 v[8:9], s[4:5], v[76:77]
	v_fma_f64 v[76:77], s[12:13], v[40:41], v[72:73]
	v_add_f64 v[42:43], v[42:43], -v[44:45]
	v_add_f64 v[44:45], v[32:33], -v[34:35]
	;; [unrolled: 1-line block ×3, first 2 shown]
	v_fmac_f64_e32 v[72:73], s[2:3], v[40:41]
	v_fmac_f64_e32 v[76:77], s[14:15], v[42:43]
	v_add_f64 v[44:45], v[44:45], v[46:47]
	v_fmac_f64_e32 v[72:73], s[0:1], v[42:43]
	v_fmac_f64_e32 v[76:77], s[4:5], v[44:45]
	v_fmac_f64_e32 v[72:73], s[4:5], v[44:45]
	v_add_f64 v[44:45], v[32:33], v[38:39]
	v_add_f64 v[68:69], v[10:11], v[32:33]
	v_fmac_f64_e32 v[10:11], -0.5, v[44:45]
	v_add_f64 v[48:49], v[48:49], v[86:87]
	v_add_f64 v[50:51], v[50:51], v[90:91]
	;; [unrolled: 1-line block ×3, first 2 shown]
	v_fma_f64 v[80:81], s[2:3], v[42:43], v[10:11]
	v_add_f64 v[32:33], v[34:35], -v[32:33]
	v_add_f64 v[34:35], v[36:37], -v[38:39]
	v_fmac_f64_e32 v[10:11], s[12:13], v[42:43]
	v_add_f64 v[48:49], v[48:49], v[92:93]
	v_add_f64 v[50:51], v[50:51], v[94:95]
	;; [unrolled: 1-line block ×3, first 2 shown]
	v_fmac_f64_e32 v[80:81], s[14:15], v[40:41]
	v_add_f64 v[32:33], v[32:33], v[34:35]
	v_fmac_f64_e32 v[10:11], s[0:1], v[40:41]
	v_add_f64 v[48:49], v[48:49], v[96:97]
	v_add_f64 v[50:51], v[50:51], v[98:99]
	v_add_f64 v[68:69], v[68:69], v[38:39]
	v_fmac_f64_e32 v[80:81], s[4:5], v[32:33]
	v_fmac_f64_e32 v[10:11], s[4:5], v[32:33]
	ds_write_b128 v88, v[16:19]
	ds_write_b128 v88, v[20:23] offset:5616
	ds_write_b128 v88, v[24:27] offset:11232
	;; [unrolled: 1-line block ×14, first 2 shown]
	s_waitcnt lgkmcnt(0)
	s_barrier
	ds_read_b128 v[0:3], v88
	v_mov_b32_e32 v30, v29
	v_accvgpr_read_b32 v10, a30
	v_mad_u64_u32 v[4:5], s[0:1], s11, v100, v[30:31]
	v_accvgpr_read_b32 v12, a32
	v_accvgpr_read_b32 v13, a33
	v_mov_b32_e32 v29, v4
	ds_read_b128 v[4:7], v88 offset:2160
	v_accvgpr_read_b32 v11, a31
	s_waitcnt lgkmcnt(1)
	v_mul_f64 v[8:9], v[12:13], v[2:3]
	v_fmac_f64_e32 v[8:9], v[10:11], v[0:1]
	s_mov_b32 s2, 0x68012abd
	v_mul_f64 v[0:1], v[12:13], v[0:1]
	s_mov_b32 s3, 0x3f42abd5
	v_fma_f64 v[0:1], v[10:11], v[2:3], -v[0:1]
	v_mul_f64 v[10:11], v[0:1], s[2:3]
	v_mad_u64_u32 v[0:1], s[0:1], s8, v89, 0
	v_mov_b32_e32 v2, v1
	v_mad_u64_u32 v[2:3], s[0:1], s9, v89, v[2:3]
	v_mov_b32_e32 v1, v2
	v_lshlrev_b64 v[2:3], 4, v[28:29]
	v_mov_b32_e32 v12, s7
	v_add_co_u32_e64 v2, s[0:1], s6, v2
	v_addc_co_u32_e64 v3, s[0:1], v12, v3, s[0:1]
	v_lshlrev_b64 v[0:1], 4, v[0:1]
	v_add_co_u32_e64 v12, s[0:1], v2, v0
	v_mul_f64 v[8:9], v[8:9], s[2:3]
	v_addc_co_u32_e64 v13, s[0:1], v3, v1, s[0:1]
	global_store_dwordx4 v[12:13], v[8:11], off
	s_mul_i32 s0, s9, 0x87
	v_accvgpr_read_b32 v11, a5
	v_accvgpr_read_b32 v10, a4
	;; [unrolled: 1-line block ×4, first 2 shown]
	s_waitcnt lgkmcnt(0)
	v_mul_f64 v[0:1], v[10:11], v[6:7]
	v_mul_f64 v[2:3], v[10:11], v[4:5]
	v_fmac_f64_e32 v[0:1], v[8:9], v[4:5]
	v_fma_f64 v[2:3], v[8:9], v[6:7], -v[2:3]
	s_mul_hi_u32 s1, s8, 0x87
	ds_read_b128 v[4:7], v88 offset:4320
	s_add_i32 s1, s1, s0
	s_mul_i32 s0, s8, 0x87
	s_lshl_b64 s[4:5], s[0:1], 4
	v_mov_b32_e32 v14, s5
	v_add_co_u32_e64 v12, s[0:1], s4, v12
	v_accvgpr_read_b32 v16, a18
	v_mul_f64 v[0:1], v[0:1], s[2:3]
	v_mul_f64 v[2:3], v[2:3], s[2:3]
	v_addc_co_u32_e64 v13, s[0:1], v13, v14, s[0:1]
	v_accvgpr_read_b32 v18, a20
	v_accvgpr_read_b32 v19, a21
	global_store_dwordx4 v[12:13], v[0:3], off
	ds_read_b128 v[0:3], v88 offset:6480
	v_accvgpr_read_b32 v17, a19
	s_waitcnt lgkmcnt(1)
	v_mul_f64 v[8:9], v[18:19], v[6:7]
	v_fmac_f64_e32 v[8:9], v[16:17], v[4:5]
	v_mul_f64 v[4:5], v[18:19], v[4:5]
	v_fma_f64 v[4:5], v[16:17], v[6:7], -v[4:5]
	v_add_co_u32_e64 v12, s[0:1], s4, v12
	v_mul_f64 v[8:9], v[8:9], s[2:3]
	v_mul_f64 v[10:11], v[4:5], s[2:3]
	v_addc_co_u32_e64 v13, s[0:1], v13, v14, s[0:1]
	global_store_dwordx4 v[12:13], v[8:11], off
	v_accvgpr_read_b32 v6, a6
	v_accvgpr_read_b32 v8, a8
	;; [unrolled: 1-line block ×4, first 2 shown]
	s_waitcnt lgkmcnt(0)
	v_mul_f64 v[4:5], v[8:9], v[2:3]
	v_fmac_f64_e32 v[4:5], v[6:7], v[0:1]
	v_mul_f64 v[0:1], v[8:9], v[0:1]
	v_fma_f64 v[0:1], v[6:7], v[2:3], -v[0:1]
	v_mul_f64 v[6:7], v[0:1], s[2:3]
	ds_read_b128 v[0:3], v88 offset:8640
	v_add_co_u32_e64 v12, s[0:1], s4, v12
	v_accvgpr_read_b32 v16, a34
	v_mul_f64 v[4:5], v[4:5], s[2:3]
	v_addc_co_u32_e64 v13, s[0:1], v13, v14, s[0:1]
	v_accvgpr_read_b32 v18, a36
	v_accvgpr_read_b32 v19, a37
	global_store_dwordx4 v[12:13], v[4:7], off
	ds_read_b128 v[4:7], v88 offset:10800
	v_accvgpr_read_b32 v17, a35
	s_waitcnt lgkmcnt(1)
	v_mul_f64 v[8:9], v[18:19], v[2:3]
	v_fmac_f64_e32 v[8:9], v[16:17], v[0:1]
	v_mul_f64 v[0:1], v[18:19], v[0:1]
	v_fma_f64 v[0:1], v[16:17], v[2:3], -v[0:1]
	v_add_co_u32_e64 v12, s[0:1], s4, v12
	v_mul_f64 v[8:9], v[8:9], s[2:3]
	v_mul_f64 v[10:11], v[0:1], s[2:3]
	v_addc_co_u32_e64 v13, s[0:1], v13, v14, s[0:1]
	global_store_dwordx4 v[12:13], v[8:11], off
	v_add_co_u32_e64 v12, s[0:1], s4, v12
	v_accvgpr_read_b32 v8, a10
	v_accvgpr_read_b32 v10, a12
	;; [unrolled: 1-line block ×4, first 2 shown]
	s_waitcnt lgkmcnt(0)
	v_mul_f64 v[0:1], v[10:11], v[6:7]
	v_mul_f64 v[2:3], v[10:11], v[4:5]
	v_fmac_f64_e32 v[0:1], v[8:9], v[4:5]
	v_fma_f64 v[2:3], v[8:9], v[6:7], -v[2:3]
	ds_read_b128 v[4:7], v88 offset:12960
	v_accvgpr_read_b32 v16, a42
	v_mul_f64 v[0:1], v[0:1], s[2:3]
	v_mul_f64 v[2:3], v[2:3], s[2:3]
	v_addc_co_u32_e64 v13, s[0:1], v13, v14, s[0:1]
	v_accvgpr_read_b32 v18, a44
	v_accvgpr_read_b32 v19, a45
	global_store_dwordx4 v[12:13], v[0:3], off
	ds_read_b128 v[0:3], v88 offset:15120
	v_accvgpr_read_b32 v17, a43
	s_waitcnt lgkmcnt(1)
	v_mul_f64 v[8:9], v[18:19], v[6:7]
	v_fmac_f64_e32 v[8:9], v[16:17], v[4:5]
	v_mul_f64 v[4:5], v[18:19], v[4:5]
	v_fma_f64 v[4:5], v[16:17], v[6:7], -v[4:5]
	v_add_co_u32_e64 v12, s[0:1], s4, v12
	v_mul_f64 v[8:9], v[8:9], s[2:3]
	v_mul_f64 v[10:11], v[4:5], s[2:3]
	v_addc_co_u32_e64 v13, s[0:1], v13, v14, s[0:1]
	global_store_dwordx4 v[12:13], v[8:11], off
	v_accvgpr_read_b32 v6, a14
	v_accvgpr_read_b32 v8, a16
	;; [unrolled: 1-line block ×4, first 2 shown]
	s_waitcnt lgkmcnt(0)
	v_mul_f64 v[4:5], v[8:9], v[2:3]
	v_fmac_f64_e32 v[4:5], v[6:7], v[0:1]
	v_mul_f64 v[0:1], v[8:9], v[0:1]
	v_fma_f64 v[0:1], v[6:7], v[2:3], -v[0:1]
	v_mul_f64 v[6:7], v[0:1], s[2:3]
	ds_read_b128 v[0:3], v88 offset:17280
	v_add_co_u32_e64 v12, s[0:1], s4, v12
	v_accvgpr_read_b32 v16, a46
	v_mul_f64 v[4:5], v[4:5], s[2:3]
	v_addc_co_u32_e64 v13, s[0:1], v13, v14, s[0:1]
	v_accvgpr_read_b32 v18, a48
	v_accvgpr_read_b32 v19, a49
	global_store_dwordx4 v[12:13], v[4:7], off
	ds_read_b128 v[4:7], v88 offset:19440
	v_accvgpr_read_b32 v17, a47
	s_waitcnt lgkmcnt(1)
	v_mul_f64 v[8:9], v[18:19], v[2:3]
	v_fmac_f64_e32 v[8:9], v[16:17], v[0:1]
	v_mul_f64 v[0:1], v[18:19], v[0:1]
	v_fma_f64 v[0:1], v[16:17], v[2:3], -v[0:1]
	v_add_co_u32_e64 v12, s[0:1], s4, v12
	v_mul_f64 v[8:9], v[8:9], s[2:3]
	v_mul_f64 v[10:11], v[0:1], s[2:3]
	v_addc_co_u32_e64 v13, s[0:1], v13, v14, s[0:1]
	global_store_dwordx4 v[12:13], v[8:11], off
	v_add_co_u32_e64 v12, s[0:1], s4, v12
	v_accvgpr_read_b32 v8, a22
	v_accvgpr_read_b32 v10, a24
	;; [unrolled: 1-line block ×4, first 2 shown]
	s_waitcnt lgkmcnt(0)
	v_mul_f64 v[0:1], v[10:11], v[6:7]
	v_mul_f64 v[2:3], v[10:11], v[4:5]
	v_fmac_f64_e32 v[0:1], v[8:9], v[4:5]
	v_fma_f64 v[2:3], v[8:9], v[6:7], -v[2:3]
	ds_read_b128 v[4:7], v88 offset:21600
	v_accvgpr_read_b32 v16, a50
	v_mul_f64 v[0:1], v[0:1], s[2:3]
	v_mul_f64 v[2:3], v[2:3], s[2:3]
	v_addc_co_u32_e64 v13, s[0:1], v13, v14, s[0:1]
	v_accvgpr_read_b32 v18, a52
	v_accvgpr_read_b32 v19, a53
	global_store_dwordx4 v[12:13], v[0:3], off
	ds_read_b128 v[0:3], v88 offset:23760
	v_accvgpr_read_b32 v17, a51
	s_waitcnt lgkmcnt(1)
	v_mul_f64 v[8:9], v[18:19], v[6:7]
	v_fmac_f64_e32 v[8:9], v[16:17], v[4:5]
	v_mul_f64 v[4:5], v[18:19], v[4:5]
	v_fma_f64 v[4:5], v[16:17], v[6:7], -v[4:5]
	v_add_co_u32_e64 v12, s[0:1], s4, v12
	v_mul_f64 v[8:9], v[8:9], s[2:3]
	v_mul_f64 v[10:11], v[4:5], s[2:3]
	v_addc_co_u32_e64 v13, s[0:1], v13, v14, s[0:1]
	global_store_dwordx4 v[12:13], v[8:11], off
	v_accvgpr_read_b32 v6, a26
	v_accvgpr_read_b32 v8, a28
	;; [unrolled: 1-line block ×4, first 2 shown]
	s_waitcnt lgkmcnt(0)
	v_mul_f64 v[4:5], v[8:9], v[2:3]
	v_fmac_f64_e32 v[4:5], v[6:7], v[0:1]
	v_mul_f64 v[0:1], v[8:9], v[0:1]
	v_fma_f64 v[0:1], v[6:7], v[2:3], -v[0:1]
	v_mul_f64 v[6:7], v[0:1], s[2:3]
	ds_read_b128 v[0:3], v88 offset:25920
	v_add_co_u32_e64 v8, s[0:1], s4, v12
	v_addc_co_u32_e64 v9, s[0:1], v13, v14, s[0:1]
	v_accvgpr_read_b32 v10, a38
	v_mul_f64 v[4:5], v[4:5], s[2:3]
	v_accvgpr_read_b32 v12, a40
	v_accvgpr_read_b32 v13, a41
	global_store_dwordx4 v[8:9], v[4:7], off
	v_accvgpr_read_b32 v11, a39
	s_waitcnt lgkmcnt(0)
	v_mul_f64 v[4:5], v[12:13], v[2:3]
	v_fmac_f64_e32 v[4:5], v[10:11], v[0:1]
	v_mul_f64 v[0:1], v[12:13], v[0:1]
	v_fma_f64 v[0:1], v[10:11], v[2:3], -v[0:1]
	v_mul_f64 v[6:7], v[0:1], s[2:3]
	v_add_co_u32_e64 v0, s[0:1], s4, v8
	v_mul_f64 v[4:5], v[4:5], s[2:3]
	v_addc_co_u32_e64 v1, s[0:1], v9, v14, s[0:1]
	global_store_dwordx4 v[0:1], v[4:7], off
	s_and_b64 exec, exec, vcc
	s_cbranch_execz .LBB0_15
; %bb.14:
	global_load_dwordx4 v[2:5], v[64:65], off offset:1872
	ds_read_b128 v[6:9], v88 offset:1872
	ds_read_b128 v[10:13], v88 offset:4032
	v_mov_b32_e32 v14, 0xffffa210
	s_mul_i32 s6, s9, 0xffffa210
	v_mad_u64_u32 v[14:15], s[0:1], s8, v14, v[0:1]
	s_sub_i32 s0, s6, s8
	v_add_u32_e32 v15, s0, v15
	s_movk_i32 s0, 0x1000
	v_mov_b32_e32 v18, s5
	s_waitcnt vmcnt(0) lgkmcnt(1)
	v_mul_f64 v[0:1], v[8:9], v[4:5]
	v_mul_f64 v[4:5], v[6:7], v[4:5]
	v_fmac_f64_e32 v[0:1], v[6:7], v[2:3]
	v_fma_f64 v[2:3], v[2:3], v[8:9], -v[4:5]
	v_mul_f64 v[0:1], v[0:1], s[2:3]
	v_mul_f64 v[2:3], v[2:3], s[2:3]
	global_store_dwordx4 v[14:15], v[0:3], off
	global_load_dwordx4 v[0:3], v[64:65], off offset:4032
	v_add_co_u32_e32 v4, vcc, s0, v64
	v_addc_co_u32_e32 v5, vcc, 0, v65, vcc
	v_add_co_u32_e32 v14, vcc, s4, v14
	v_addc_co_u32_e32 v15, vcc, v15, v18, vcc
	s_movk_i32 s0, 0x2000
	s_waitcnt vmcnt(0) lgkmcnt(0)
	v_mul_f64 v[6:7], v[12:13], v[2:3]
	v_mul_f64 v[2:3], v[10:11], v[2:3]
	v_fmac_f64_e32 v[6:7], v[10:11], v[0:1]
	v_fma_f64 v[2:3], v[0:1], v[12:13], -v[2:3]
	v_mul_f64 v[0:1], v[6:7], s[2:3]
	v_mul_f64 v[2:3], v[2:3], s[2:3]
	global_store_dwordx4 v[14:15], v[0:3], off
	global_load_dwordx4 v[0:3], v[4:5], off offset:2096
	ds_read_b128 v[4:7], v88 offset:6192
	ds_read_b128 v[8:11], v88 offset:8352
	v_add_co_u32_e32 v12, vcc, s0, v64
	v_addc_co_u32_e32 v13, vcc, 0, v65, vcc
	v_add_co_u32_e32 v14, vcc, s4, v14
	v_addc_co_u32_e32 v15, vcc, v15, v18, vcc
	s_movk_i32 s0, 0x3000
	s_waitcnt vmcnt(0) lgkmcnt(1)
	v_mul_f64 v[16:17], v[6:7], v[2:3]
	v_mul_f64 v[2:3], v[4:5], v[2:3]
	v_fmac_f64_e32 v[16:17], v[4:5], v[0:1]
	v_fma_f64 v[2:3], v[0:1], v[6:7], -v[2:3]
	v_mul_f64 v[0:1], v[16:17], s[2:3]
	v_mul_f64 v[2:3], v[2:3], s[2:3]
	global_store_dwordx4 v[14:15], v[0:3], off
	global_load_dwordx4 v[0:3], v[12:13], off offset:160
	v_add_co_u32_e32 v14, vcc, s4, v14
	v_addc_co_u32_e32 v15, vcc, v15, v18, vcc
	s_waitcnt vmcnt(0) lgkmcnt(0)
	v_mul_f64 v[4:5], v[10:11], v[2:3]
	v_mul_f64 v[2:3], v[8:9], v[2:3]
	v_fmac_f64_e32 v[4:5], v[8:9], v[0:1]
	v_fma_f64 v[2:3], v[0:1], v[10:11], -v[2:3]
	v_mul_f64 v[0:1], v[4:5], s[2:3]
	v_mul_f64 v[2:3], v[2:3], s[2:3]
	global_store_dwordx4 v[14:15], v[0:3], off
	global_load_dwordx4 v[0:3], v[12:13], off offset:2320
	ds_read_b128 v[4:7], v88 offset:10512
	ds_read_b128 v[8:11], v88 offset:12672
	v_add_co_u32_e32 v12, vcc, s0, v64
	v_addc_co_u32_e32 v13, vcc, 0, v65, vcc
	v_add_co_u32_e32 v14, vcc, s4, v14
	v_addc_co_u32_e32 v15, vcc, v15, v18, vcc
	s_movk_i32 s0, 0x4000
	s_waitcnt vmcnt(0) lgkmcnt(1)
	v_mul_f64 v[16:17], v[6:7], v[2:3]
	v_mul_f64 v[2:3], v[4:5], v[2:3]
	v_fmac_f64_e32 v[16:17], v[4:5], v[0:1]
	v_fma_f64 v[2:3], v[0:1], v[6:7], -v[2:3]
	v_mul_f64 v[0:1], v[16:17], s[2:3]
	v_mul_f64 v[2:3], v[2:3], s[2:3]
	global_store_dwordx4 v[14:15], v[0:3], off
	global_load_dwordx4 v[0:3], v[12:13], off offset:384
	v_add_co_u32_e32 v14, vcc, s4, v14
	v_addc_co_u32_e32 v15, vcc, v15, v18, vcc
	;; [unrolled: 27-line block ×4, first 2 shown]
	s_waitcnt vmcnt(0) lgkmcnt(0)
	v_mul_f64 v[4:5], v[10:11], v[2:3]
	v_mul_f64 v[2:3], v[8:9], v[2:3]
	v_fmac_f64_e32 v[4:5], v[8:9], v[0:1]
	v_fma_f64 v[2:3], v[0:1], v[10:11], -v[2:3]
	v_mul_f64 v[0:1], v[4:5], s[2:3]
	v_mul_f64 v[2:3], v[2:3], s[2:3]
	global_store_dwordx4 v[14:15], v[0:3], off
	global_load_dwordx4 v[0:3], v[12:13], off offset:2992
	ds_read_b128 v[4:7], v88 offset:23472
	ds_read_b128 v[8:11], v88 offset:25632
	v_add_co_u32_e32 v12, vcc, s0, v64
	v_addc_co_u32_e32 v13, vcc, 0, v65, vcc
	v_add_co_u32_e32 v14, vcc, s4, v14
	v_addc_co_u32_e32 v15, vcc, v15, v18, vcc
	s_waitcnt vmcnt(0) lgkmcnt(1)
	v_mul_f64 v[16:17], v[6:7], v[2:3]
	v_mul_f64 v[2:3], v[4:5], v[2:3]
	v_fmac_f64_e32 v[16:17], v[4:5], v[0:1]
	v_fma_f64 v[2:3], v[0:1], v[6:7], -v[2:3]
	v_mul_f64 v[0:1], v[16:17], s[2:3]
	v_mul_f64 v[2:3], v[2:3], s[2:3]
	global_store_dwordx4 v[14:15], v[0:3], off
	global_load_dwordx4 v[0:3], v[12:13], off offset:1056
	v_add_co_u32_e32 v14, vcc, s4, v14
	v_addc_co_u32_e32 v15, vcc, v15, v18, vcc
	s_waitcnt vmcnt(0) lgkmcnt(0)
	v_mul_f64 v[4:5], v[10:11], v[2:3]
	v_mul_f64 v[2:3], v[8:9], v[2:3]
	v_fmac_f64_e32 v[4:5], v[8:9], v[0:1]
	v_fma_f64 v[2:3], v[0:1], v[10:11], -v[2:3]
	v_mul_f64 v[0:1], v[4:5], s[2:3]
	v_mul_f64 v[2:3], v[2:3], s[2:3]
	global_store_dwordx4 v[14:15], v[0:3], off
	global_load_dwordx4 v[0:3], v[12:13], off offset:3216
	ds_read_b128 v[4:7], v88 offset:27792
	s_waitcnt vmcnt(0) lgkmcnt(0)
	v_mul_f64 v[8:9], v[6:7], v[2:3]
	v_mul_f64 v[2:3], v[4:5], v[2:3]
	v_fmac_f64_e32 v[8:9], v[4:5], v[0:1]
	v_fma_f64 v[2:3], v[0:1], v[6:7], -v[2:3]
	v_add_co_u32_e32 v4, vcc, s4, v14
	v_mul_f64 v[0:1], v[8:9], s[2:3]
	v_mul_f64 v[2:3], v[2:3], s[2:3]
	v_addc_co_u32_e32 v5, vcc, v15, v18, vcc
	global_store_dwordx4 v[4:5], v[0:3], off
.LBB0_15:
	s_endpgm
	.section	.rodata,"a",@progbits
	.p2align	6, 0x0
	.amdhsa_kernel bluestein_single_fwd_len1755_dim1_dp_op_CI_CI
		.amdhsa_group_segment_fixed_size 28080
		.amdhsa_private_segment_fixed_size 0
		.amdhsa_kernarg_size 104
		.amdhsa_user_sgpr_count 6
		.amdhsa_user_sgpr_private_segment_buffer 1
		.amdhsa_user_sgpr_dispatch_ptr 0
		.amdhsa_user_sgpr_queue_ptr 0
		.amdhsa_user_sgpr_kernarg_segment_ptr 1
		.amdhsa_user_sgpr_dispatch_id 0
		.amdhsa_user_sgpr_flat_scratch_init 0
		.amdhsa_user_sgpr_kernarg_preload_length 0
		.amdhsa_user_sgpr_kernarg_preload_offset 0
		.amdhsa_user_sgpr_private_segment_size 0
		.amdhsa_uses_dynamic_stack 0
		.amdhsa_system_sgpr_private_segment_wavefront_offset 0
		.amdhsa_system_sgpr_workgroup_id_x 1
		.amdhsa_system_sgpr_workgroup_id_y 0
		.amdhsa_system_sgpr_workgroup_id_z 0
		.amdhsa_system_sgpr_workgroup_info 0
		.amdhsa_system_vgpr_workitem_id 0
		.amdhsa_next_free_vgpr 405
		.amdhsa_next_free_sgpr 50
		.amdhsa_accum_offset 256
		.amdhsa_reserve_vcc 1
		.amdhsa_reserve_flat_scratch 0
		.amdhsa_float_round_mode_32 0
		.amdhsa_float_round_mode_16_64 0
		.amdhsa_float_denorm_mode_32 3
		.amdhsa_float_denorm_mode_16_64 3
		.amdhsa_dx10_clamp 1
		.amdhsa_ieee_mode 1
		.amdhsa_fp16_overflow 0
		.amdhsa_tg_split 0
		.amdhsa_exception_fp_ieee_invalid_op 0
		.amdhsa_exception_fp_denorm_src 0
		.amdhsa_exception_fp_ieee_div_zero 0
		.amdhsa_exception_fp_ieee_overflow 0
		.amdhsa_exception_fp_ieee_underflow 0
		.amdhsa_exception_fp_ieee_inexact 0
		.amdhsa_exception_int_div_zero 0
	.end_amdhsa_kernel
	.text
.Lfunc_end0:
	.size	bluestein_single_fwd_len1755_dim1_dp_op_CI_CI, .Lfunc_end0-bluestein_single_fwd_len1755_dim1_dp_op_CI_CI
                                        ; -- End function
	.section	.AMDGPU.csdata,"",@progbits
; Kernel info:
; codeLenInByte = 34472
; NumSgprs: 54
; NumVgprs: 256
; NumAgprs: 149
; TotalNumVgprs: 405
; ScratchSize: 0
; MemoryBound: 0
; FloatMode: 240
; IeeeMode: 1
; LDSByteSize: 28080 bytes/workgroup (compile time only)
; SGPRBlocks: 6
; VGPRBlocks: 50
; NumSGPRsForWavesPerEU: 54
; NumVGPRsForWavesPerEU: 405
; AccumOffset: 256
; Occupancy: 1
; WaveLimiterHint : 1
; COMPUTE_PGM_RSRC2:SCRATCH_EN: 0
; COMPUTE_PGM_RSRC2:USER_SGPR: 6
; COMPUTE_PGM_RSRC2:TRAP_HANDLER: 0
; COMPUTE_PGM_RSRC2:TGID_X_EN: 1
; COMPUTE_PGM_RSRC2:TGID_Y_EN: 0
; COMPUTE_PGM_RSRC2:TGID_Z_EN: 0
; COMPUTE_PGM_RSRC2:TIDIG_COMP_CNT: 0
; COMPUTE_PGM_RSRC3_GFX90A:ACCUM_OFFSET: 63
; COMPUTE_PGM_RSRC3_GFX90A:TG_SPLIT: 0
	.text
	.p2alignl 6, 3212836864
	.fill 256, 4, 3212836864
	.type	__hip_cuid_69e0927452355060,@object ; @__hip_cuid_69e0927452355060
	.section	.bss,"aw",@nobits
	.globl	__hip_cuid_69e0927452355060
__hip_cuid_69e0927452355060:
	.byte	0                               ; 0x0
	.size	__hip_cuid_69e0927452355060, 1

	.ident	"AMD clang version 19.0.0git (https://github.com/RadeonOpenCompute/llvm-project roc-6.4.0 25133 c7fe45cf4b819c5991fe208aaa96edf142730f1d)"
	.section	".note.GNU-stack","",@progbits
	.addrsig
	.addrsig_sym __hip_cuid_69e0927452355060
	.amdgpu_metadata
---
amdhsa.kernels:
  - .agpr_count:     149
    .args:
      - .actual_access:  read_only
        .address_space:  global
        .offset:         0
        .size:           8
        .value_kind:     global_buffer
      - .actual_access:  read_only
        .address_space:  global
        .offset:         8
        .size:           8
        .value_kind:     global_buffer
      - .actual_access:  read_only
        .address_space:  global
        .offset:         16
        .size:           8
        .value_kind:     global_buffer
      - .actual_access:  read_only
        .address_space:  global
        .offset:         24
        .size:           8
        .value_kind:     global_buffer
      - .actual_access:  read_only
        .address_space:  global
        .offset:         32
        .size:           8
        .value_kind:     global_buffer
      - .offset:         40
        .size:           8
        .value_kind:     by_value
      - .address_space:  global
        .offset:         48
        .size:           8
        .value_kind:     global_buffer
      - .address_space:  global
        .offset:         56
        .size:           8
        .value_kind:     global_buffer
      - .address_space:  global
        .offset:         64
        .size:           8
        .value_kind:     global_buffer
      - .address_space:  global
        .offset:         72
        .size:           8
        .value_kind:     global_buffer
      - .offset:         80
        .size:           4
        .value_kind:     by_value
      - .address_space:  global
        .offset:         88
        .size:           8
        .value_kind:     global_buffer
      - .address_space:  global
        .offset:         96
        .size:           8
        .value_kind:     global_buffer
    .group_segment_fixed_size: 28080
    .kernarg_segment_align: 8
    .kernarg_segment_size: 104
    .language:       OpenCL C
    .language_version:
      - 2
      - 0
    .max_flat_workgroup_size: 117
    .name:           bluestein_single_fwd_len1755_dim1_dp_op_CI_CI
    .private_segment_fixed_size: 0
    .sgpr_count:     54
    .sgpr_spill_count: 0
    .symbol:         bluestein_single_fwd_len1755_dim1_dp_op_CI_CI.kd
    .uniform_work_group_size: 1
    .uses_dynamic_stack: false
    .vgpr_count:     405
    .vgpr_spill_count: 0
    .wavefront_size: 64
amdhsa.target:   amdgcn-amd-amdhsa--gfx90a
amdhsa.version:
  - 1
  - 2
...

	.end_amdgpu_metadata
